;; amdgpu-corpus repo=ROCm/rocFFT kind=compiled arch=gfx906 opt=O3
	.text
	.amdgcn_target "amdgcn-amd-amdhsa--gfx906"
	.amdhsa_code_object_version 6
	.protected	fft_rtc_fwd_len825_factors_11_5_5_3_wgs_55_tpt_55_dp_op_CI_CI_sbrr_dirReg ; -- Begin function fft_rtc_fwd_len825_factors_11_5_5_3_wgs_55_tpt_55_dp_op_CI_CI_sbrr_dirReg
	.globl	fft_rtc_fwd_len825_factors_11_5_5_3_wgs_55_tpt_55_dp_op_CI_CI_sbrr_dirReg
	.p2align	8
	.type	fft_rtc_fwd_len825_factors_11_5_5_3_wgs_55_tpt_55_dp_op_CI_CI_sbrr_dirReg,@function
fft_rtc_fwd_len825_factors_11_5_5_3_wgs_55_tpt_55_dp_op_CI_CI_sbrr_dirReg: ; @fft_rtc_fwd_len825_factors_11_5_5_3_wgs_55_tpt_55_dp_op_CI_CI_sbrr_dirReg
; %bb.0:
	s_load_dwordx4 s[16:19], s[4:5], 0x18
	s_load_dwordx4 s[12:15], s[4:5], 0x0
	;; [unrolled: 1-line block ×3, first 2 shown]
	v_mul_u32_u24_e32 v1, 0x4a8, v0
	v_add_u32_sdwa v5, s6, v1 dst_sel:DWORD dst_unused:UNUSED_PAD src0_sel:DWORD src1_sel:WORD_1
	s_waitcnt lgkmcnt(0)
	s_load_dwordx2 s[20:21], s[16:17], 0x0
	s_load_dwordx2 s[2:3], s[18:19], 0x0
	v_cmp_lt_u64_e64 s[0:1], s[14:15], 2
	v_mov_b32_e32 v3, 0
	v_mov_b32_e32 v1, 0
	;; [unrolled: 1-line block ×3, first 2 shown]
	s_and_b64 vcc, exec, s[0:1]
	v_mov_b32_e32 v2, 0
	s_cbranch_vccnz .LBB0_8
; %bb.1:
	s_load_dwordx2 s[0:1], s[4:5], 0x10
	s_add_u32 s6, s18, 8
	s_addc_u32 s7, s19, 0
	s_add_u32 s22, s16, 8
	v_mov_b32_e32 v1, 0
	s_addc_u32 s23, s17, 0
	v_mov_b32_e32 v2, 0
	s_waitcnt lgkmcnt(0)
	s_add_u32 s24, s0, 8
	v_mov_b32_e32 v57, v2
	s_addc_u32 s25, s1, 0
	s_mov_b64 s[26:27], 1
	v_mov_b32_e32 v56, v1
.LBB0_2:                                ; =>This Inner Loop Header: Depth=1
	s_load_dwordx2 s[28:29], s[24:25], 0x0
                                        ; implicit-def: $vgpr58_vgpr59
	s_waitcnt lgkmcnt(0)
	v_or_b32_e32 v4, s29, v6
	v_cmp_ne_u64_e32 vcc, 0, v[3:4]
	s_and_saveexec_b64 s[0:1], vcc
	s_xor_b64 s[30:31], exec, s[0:1]
	s_cbranch_execz .LBB0_4
; %bb.3:                                ;   in Loop: Header=BB0_2 Depth=1
	v_cvt_f32_u32_e32 v4, s28
	v_cvt_f32_u32_e32 v7, s29
	s_sub_u32 s0, 0, s28
	s_subb_u32 s1, 0, s29
	v_mac_f32_e32 v4, 0x4f800000, v7
	v_rcp_f32_e32 v4, v4
	v_mul_f32_e32 v4, 0x5f7ffffc, v4
	v_mul_f32_e32 v7, 0x2f800000, v4
	v_trunc_f32_e32 v7, v7
	v_mac_f32_e32 v4, 0xcf800000, v7
	v_cvt_u32_f32_e32 v7, v7
	v_cvt_u32_f32_e32 v4, v4
	v_mul_lo_u32 v8, s0, v7
	v_mul_hi_u32 v9, s0, v4
	v_mul_lo_u32 v11, s1, v4
	v_mul_lo_u32 v10, s0, v4
	v_add_u32_e32 v8, v9, v8
	v_add_u32_e32 v8, v8, v11
	v_mul_hi_u32 v9, v4, v10
	v_mul_lo_u32 v11, v4, v8
	v_mul_hi_u32 v13, v4, v8
	v_mul_hi_u32 v12, v7, v10
	v_mul_lo_u32 v10, v7, v10
	v_mul_hi_u32 v14, v7, v8
	v_add_co_u32_e32 v9, vcc, v9, v11
	v_addc_co_u32_e32 v11, vcc, 0, v13, vcc
	v_mul_lo_u32 v8, v7, v8
	v_add_co_u32_e32 v9, vcc, v9, v10
	v_addc_co_u32_e32 v9, vcc, v11, v12, vcc
	v_addc_co_u32_e32 v10, vcc, 0, v14, vcc
	v_add_co_u32_e32 v8, vcc, v9, v8
	v_addc_co_u32_e32 v9, vcc, 0, v10, vcc
	v_add_co_u32_e32 v4, vcc, v4, v8
	v_addc_co_u32_e32 v7, vcc, v7, v9, vcc
	v_mul_lo_u32 v8, s0, v7
	v_mul_hi_u32 v9, s0, v4
	v_mul_lo_u32 v10, s1, v4
	v_mul_lo_u32 v11, s0, v4
	v_add_u32_e32 v8, v9, v8
	v_add_u32_e32 v8, v8, v10
	v_mul_lo_u32 v12, v4, v8
	v_mul_hi_u32 v13, v4, v11
	v_mul_hi_u32 v14, v4, v8
	;; [unrolled: 1-line block ×3, first 2 shown]
	v_mul_lo_u32 v11, v7, v11
	v_mul_hi_u32 v9, v7, v8
	v_add_co_u32_e32 v12, vcc, v13, v12
	v_addc_co_u32_e32 v13, vcc, 0, v14, vcc
	v_mul_lo_u32 v8, v7, v8
	v_add_co_u32_e32 v11, vcc, v12, v11
	v_addc_co_u32_e32 v10, vcc, v13, v10, vcc
	v_addc_co_u32_e32 v9, vcc, 0, v9, vcc
	v_add_co_u32_e32 v8, vcc, v10, v8
	v_addc_co_u32_e32 v9, vcc, 0, v9, vcc
	v_add_co_u32_e32 v4, vcc, v4, v8
	v_addc_co_u32_e32 v9, vcc, v7, v9, vcc
	v_mad_u64_u32 v[7:8], s[0:1], v5, v9, 0
	v_mul_hi_u32 v10, v5, v4
	v_add_co_u32_e32 v11, vcc, v10, v7
	v_addc_co_u32_e32 v12, vcc, 0, v8, vcc
	v_mad_u64_u32 v[7:8], s[0:1], v6, v4, 0
	v_mad_u64_u32 v[9:10], s[0:1], v6, v9, 0
	v_add_co_u32_e32 v4, vcc, v11, v7
	v_addc_co_u32_e32 v4, vcc, v12, v8, vcc
	v_addc_co_u32_e32 v7, vcc, 0, v10, vcc
	v_add_co_u32_e32 v4, vcc, v4, v9
	v_addc_co_u32_e32 v9, vcc, 0, v7, vcc
	v_mul_lo_u32 v10, s29, v4
	v_mul_lo_u32 v11, s28, v9
	v_mad_u64_u32 v[7:8], s[0:1], s28, v4, 0
	v_add3_u32 v8, v8, v11, v10
	v_sub_u32_e32 v10, v6, v8
	v_mov_b32_e32 v11, s29
	v_sub_co_u32_e32 v7, vcc, v5, v7
	v_subb_co_u32_e64 v10, s[0:1], v10, v11, vcc
	v_subrev_co_u32_e64 v11, s[0:1], s28, v7
	v_subbrev_co_u32_e64 v10, s[0:1], 0, v10, s[0:1]
	v_cmp_le_u32_e64 s[0:1], s29, v10
	v_cndmask_b32_e64 v12, 0, -1, s[0:1]
	v_cmp_le_u32_e64 s[0:1], s28, v11
	v_cndmask_b32_e64 v11, 0, -1, s[0:1]
	v_cmp_eq_u32_e64 s[0:1], s29, v10
	v_cndmask_b32_e64 v10, v12, v11, s[0:1]
	v_add_co_u32_e64 v11, s[0:1], 2, v4
	v_addc_co_u32_e64 v12, s[0:1], 0, v9, s[0:1]
	v_add_co_u32_e64 v13, s[0:1], 1, v4
	v_addc_co_u32_e64 v14, s[0:1], 0, v9, s[0:1]
	v_subb_co_u32_e32 v8, vcc, v6, v8, vcc
	v_cmp_ne_u32_e64 s[0:1], 0, v10
	v_cmp_le_u32_e32 vcc, s29, v8
	v_cndmask_b32_e64 v10, v14, v12, s[0:1]
	v_cndmask_b32_e64 v12, 0, -1, vcc
	v_cmp_le_u32_e32 vcc, s28, v7
	v_cndmask_b32_e64 v7, 0, -1, vcc
	v_cmp_eq_u32_e32 vcc, s29, v8
	v_cndmask_b32_e32 v7, v12, v7, vcc
	v_cmp_ne_u32_e32 vcc, 0, v7
	v_cndmask_b32_e64 v7, v13, v11, s[0:1]
	v_cndmask_b32_e32 v59, v9, v10, vcc
	v_cndmask_b32_e32 v58, v4, v7, vcc
.LBB0_4:                                ;   in Loop: Header=BB0_2 Depth=1
	s_andn2_saveexec_b64 s[0:1], s[30:31]
	s_cbranch_execz .LBB0_6
; %bb.5:                                ;   in Loop: Header=BB0_2 Depth=1
	v_cvt_f32_u32_e32 v4, s28
	s_sub_i32 s30, 0, s28
	v_mov_b32_e32 v59, v3
	v_rcp_iflag_f32_e32 v4, v4
	v_mul_f32_e32 v4, 0x4f7ffffe, v4
	v_cvt_u32_f32_e32 v4, v4
	v_mul_lo_u32 v7, s30, v4
	v_mul_hi_u32 v7, v4, v7
	v_add_u32_e32 v4, v4, v7
	v_mul_hi_u32 v4, v5, v4
	v_mul_lo_u32 v7, v4, s28
	v_add_u32_e32 v8, 1, v4
	v_sub_u32_e32 v7, v5, v7
	v_subrev_u32_e32 v9, s28, v7
	v_cmp_le_u32_e32 vcc, s28, v7
	v_cndmask_b32_e32 v7, v7, v9, vcc
	v_cndmask_b32_e32 v4, v4, v8, vcc
	v_add_u32_e32 v8, 1, v4
	v_cmp_le_u32_e32 vcc, s28, v7
	v_cndmask_b32_e32 v58, v4, v8, vcc
.LBB0_6:                                ;   in Loop: Header=BB0_2 Depth=1
	s_or_b64 exec, exec, s[0:1]
	v_mul_lo_u32 v4, v59, s28
	v_mul_lo_u32 v9, v58, s29
	v_mad_u64_u32 v[7:8], s[0:1], v58, s28, 0
	s_load_dwordx2 s[0:1], s[22:23], 0x0
	s_load_dwordx2 s[28:29], s[6:7], 0x0
	v_add3_u32 v4, v8, v9, v4
	v_sub_co_u32_e32 v5, vcc, v5, v7
	v_subb_co_u32_e32 v4, vcc, v6, v4, vcc
	s_waitcnt lgkmcnt(0)
	v_mul_lo_u32 v6, s0, v4
	v_mul_lo_u32 v7, s1, v5
	v_mad_u64_u32 v[1:2], s[0:1], s0, v5, v[1:2]
	v_mul_lo_u32 v4, s28, v4
	v_mul_lo_u32 v8, s29, v5
	v_mad_u64_u32 v[56:57], s[0:1], s28, v5, v[56:57]
	s_add_u32 s26, s26, 1
	s_addc_u32 s27, s27, 0
	s_add_u32 s6, s6, 8
	v_add3_u32 v57, v8, v57, v4
	s_addc_u32 s7, s7, 0
	v_mov_b32_e32 v4, s14
	s_add_u32 s22, s22, 8
	v_mov_b32_e32 v5, s15
	s_addc_u32 s23, s23, 0
	v_cmp_ge_u64_e32 vcc, s[26:27], v[4:5]
	s_add_u32 s24, s24, 8
	v_add3_u32 v2, v7, v2, v6
	s_addc_u32 s25, s25, 0
	s_cbranch_vccnz .LBB0_9
; %bb.7:                                ;   in Loop: Header=BB0_2 Depth=1
	v_mov_b32_e32 v5, v58
	v_mov_b32_e32 v6, v59
	s_branch .LBB0_2
.LBB0_8:
	v_mov_b32_e32 v57, v2
	v_mov_b32_e32 v59, v6
	;; [unrolled: 1-line block ×4, first 2 shown]
.LBB0_9:
	s_load_dwordx2 s[0:1], s[4:5], 0x28
	s_lshl_b64 s[14:15], s[14:15], 3
	s_add_u32 s4, s18, s14
	s_addc_u32 s5, s19, s15
                                        ; implicit-def: $vgpr100
                                        ; implicit-def: $vgpr102
	s_waitcnt lgkmcnt(0)
	v_cmp_gt_u64_e32 vcc, s[0:1], v[58:59]
	v_cmp_le_u64_e64 s[0:1], s[0:1], v[58:59]
	s_and_saveexec_b64 s[6:7], s[0:1]
	s_xor_b64 s[0:1], exec, s[6:7]
; %bb.10:
	s_mov_b32 s6, 0x4a7904b
	v_mul_hi_u32 v1, v0, s6
	v_mul_u32_u24_e32 v1, 55, v1
	v_sub_u32_e32 v100, v0, v1
	v_add_u32_e32 v102, 55, v100
                                        ; implicit-def: $vgpr0
                                        ; implicit-def: $vgpr1_vgpr2
; %bb.11:
	s_andn2_saveexec_b64 s[6:7], s[0:1]
	s_cbranch_execz .LBB0_13
; %bb.12:
	s_add_u32 s0, s16, s14
	s_mov_b32 s14, 0x4a7904b
	v_mul_hi_u32 v3, v0, s14
	s_addc_u32 s1, s17, s15
	s_load_dwordx2 s[0:1], s[0:1], 0x0
	v_mul_u32_u24_e32 v3, 55, v3
	v_sub_u32_e32 v100, v0, v3
	v_mad_u64_u32 v[3:4], s[14:15], s20, v100, 0
	s_waitcnt lgkmcnt(0)
	v_mul_lo_u32 v9, s1, v58
	v_mul_lo_u32 v10, s0, v59
	v_mad_u64_u32 v[5:6], s[0:1], s0, v58, 0
	v_mov_b32_e32 v0, v4
	v_mad_u64_u32 v[7:8], s[0:1], s21, v100, v[0:1]
	v_add3_u32 v6, v6, v10, v9
	v_lshlrev_b64 v[5:6], 4, v[5:6]
	v_mov_b32_e32 v4, v7
	v_mov_b32_e32 v0, s9
	v_add_co_u32_e64 v7, s[0:1], s8, v5
	v_add_u32_e32 v102, 55, v100
	v_addc_co_u32_e64 v8, s[0:1], v0, v6, s[0:1]
	v_mad_u64_u32 v[5:6], s[0:1], s20, v102, 0
	v_lshlrev_b64 v[0:1], 4, v[1:2]
	v_add_u32_e32 v22, 0xdc, v100
	v_add_co_u32_e64 v67, s[0:1], v7, v0
	v_mov_b32_e32 v2, v6
	v_addc_co_u32_e64 v68, s[0:1], v8, v1, s[0:1]
	v_lshlrev_b64 v[0:1], 4, v[3:4]
	v_mad_u64_u32 v[2:3], s[0:1], s21, v102, v[2:3]
	v_add_u32_e32 v3, 0x6e, v100
	v_mad_u64_u32 v[8:9], s[0:1], s20, v3, 0
	v_add_co_u32_e64 v10, s[0:1], v67, v0
	v_mov_b32_e32 v6, v2
	v_mov_b32_e32 v2, v9
	v_addc_co_u32_e64 v11, s[0:1], v68, v1, s[0:1]
	v_mad_u64_u32 v[12:13], s[0:1], s21, v3, v[2:3]
	v_lshlrev_b64 v[0:1], 4, v[5:6]
	v_add_u32_e32 v23, 0x113, v100
	v_add_co_u32_e64 v13, s[0:1], v67, v0
	v_mov_b32_e32 v9, v12
	v_add_u32_e32 v12, 0xa5, v100
	v_addc_co_u32_e64 v14, s[0:1], v68, v1, s[0:1]
	global_load_dwordx4 v[0:3], v[10:11], off
	global_load_dwordx4 v[4:7], v[13:14], off
	v_mad_u64_u32 v[10:11], s[0:1], s20, v12, 0
	v_lshlrev_b64 v[8:9], 4, v[8:9]
	v_add_u32_e32 v33, 0x181, v100
	v_add_co_u32_e64 v16, s[0:1], v67, v8
	v_mov_b32_e32 v8, v11
	v_addc_co_u32_e64 v17, s[0:1], v68, v9, s[0:1]
	v_mad_u64_u32 v[8:9], s[0:1], s21, v12, v[8:9]
	v_mad_u64_u32 v[18:19], s[0:1], s20, v22, 0
	v_mov_b32_e32 v11, v8
	v_lshlrev_b64 v[8:9], 4, v[10:11]
	v_add_u32_e32 v42, 0x1ef, v100
	v_add_co_u32_e64 v20, s[0:1], v67, v8
	v_addc_co_u32_e64 v21, s[0:1], v68, v9, s[0:1]
	global_load_dwordx4 v[8:11], v[16:17], off
	global_load_dwordx4 v[12:15], v[20:21], off
	v_mad_u64_u32 v[16:17], s[0:1], s20, v23, 0
	v_mad_u64_u32 v[19:20], s[0:1], s21, v22, v[19:20]
	v_mad_u64_u32 v[20:21], s[0:1], s21, v23, v[17:18]
	v_lshlrev_b64 v[17:18], 4, v[18:19]
	v_add_u32_e32 v49, 0x25d, v100
	v_add_co_u32_e64 v24, s[0:1], v67, v17
	v_addc_co_u32_e64 v25, s[0:1], v68, v18, s[0:1]
	v_add_u32_e32 v18, 0x14a, v100
	v_mad_u64_u32 v[26:27], s[0:1], s20, v18, 0
	v_mov_b32_e32 v17, v20
	v_lshlrev_b64 v[16:17], 4, v[16:17]
	v_add_u32_e32 v55, 0x2cb, v100
	v_add_co_u32_e64 v28, s[0:1], v67, v16
	v_mov_b32_e32 v16, v27
	v_addc_co_u32_e64 v29, s[0:1], v68, v17, s[0:1]
	v_mad_u64_u32 v[30:31], s[0:1], s21, v18, v[16:17]
	v_mad_u64_u32 v[31:32], s[0:1], s20, v33, 0
	v_mov_b32_e32 v27, v30
	global_load_dwordx4 v[16:19], v[24:25], off
	global_load_dwordx4 v[20:23], v[28:29], off
	v_lshlrev_b64 v[24:25], 4, v[26:27]
	v_mov_b32_e32 v26, v32
	v_mad_u64_u32 v[26:27], s[0:1], s21, v33, v[26:27]
	v_add_co_u32_e64 v33, s[0:1], v67, v24
	v_mov_b32_e32 v32, v26
	v_add_u32_e32 v26, 0x1b8, v100
	v_addc_co_u32_e64 v34, s[0:1], v68, v25, s[0:1]
	v_mad_u64_u32 v[35:36], s[0:1], s20, v26, 0
	v_lshlrev_b64 v[24:25], 4, v[31:32]
	v_add_co_u32_e64 v37, s[0:1], v67, v24
	v_mov_b32_e32 v24, v36
	v_addc_co_u32_e64 v38, s[0:1], v68, v25, s[0:1]
	v_mad_u64_u32 v[39:40], s[0:1], s21, v26, v[24:25]
	v_mad_u64_u32 v[40:41], s[0:1], s20, v42, 0
	global_load_dwordx4 v[24:27], v[33:34], off
	global_load_dwordx4 v[28:31], v[37:38], off
	v_mov_b32_e32 v36, v39
	v_mov_b32_e32 v34, v41
	v_lshlrev_b64 v[32:33], 4, v[35:36]
	v_mad_u64_u32 v[34:35], s[0:1], s21, v42, v[34:35]
	v_add_co_u32_e64 v42, s[0:1], v67, v32
	v_mov_b32_e32 v41, v34
	v_add_u32_e32 v34, 0x226, v100
	v_addc_co_u32_e64 v43, s[0:1], v68, v33, s[0:1]
	v_lshlrev_b64 v[32:33], 4, v[40:41]
	v_mad_u64_u32 v[40:41], s[0:1], s20, v34, 0
	v_add_co_u32_e64 v44, s[0:1], v67, v32
	v_mov_b32_e32 v32, v41
	v_addc_co_u32_e64 v45, s[0:1], v68, v33, s[0:1]
	v_mad_u64_u32 v[46:47], s[0:1], s21, v34, v[32:33]
	v_mad_u64_u32 v[47:48], s[0:1], s20, v49, 0
	global_load_dwordx4 v[32:35], v[42:43], off
	global_load_dwordx4 v[36:39], v[44:45], off
	v_mov_b32_e32 v41, v46
	v_mov_b32_e32 v42, v48
	v_mad_u64_u32 v[42:43], s[0:1], s21, v49, v[42:43]
	v_lshlrev_b64 v[40:41], 4, v[40:41]
	v_add_co_u32_e64 v49, s[0:1], v67, v40
	v_mov_b32_e32 v48, v42
	v_add_u32_e32 v42, 0x294, v100
	v_addc_co_u32_e64 v50, s[0:1], v68, v41, s[0:1]
	v_mad_u64_u32 v[51:52], s[0:1], s20, v42, 0
	v_lshlrev_b64 v[40:41], 4, v[47:48]
	v_add_co_u32_e64 v53, s[0:1], v67, v40
	v_mov_b32_e32 v40, v52
	v_addc_co_u32_e64 v54, s[0:1], v68, v41, s[0:1]
	v_mad_u64_u32 v[60:61], s[0:1], s21, v42, v[40:41]
	v_mad_u64_u32 v[61:62], s[0:1], s20, v55, 0
	global_load_dwordx4 v[40:43], v[49:50], off
	global_load_dwordx4 v[44:47], v[53:54], off
	v_mov_b32_e32 v52, v60
	v_mov_b32_e32 v50, v62
	v_lshlrev_b64 v[48:49], 4, v[51:52]
	v_mad_u64_u32 v[50:51], s[0:1], s21, v55, v[50:51]
	v_add_u32_e32 v51, 0x302, v100
	v_mad_u64_u32 v[63:64], s[0:1], s20, v51, 0
	v_add_co_u32_e64 v65, s[0:1], v67, v48
	v_mov_b32_e32 v62, v50
	v_addc_co_u32_e64 v66, s[0:1], v68, v49, s[0:1]
	v_lshlrev_b64 v[48:49], 4, v[61:62]
	v_mov_b32_e32 v50, v64
	v_mad_u64_u32 v[60:61], s[0:1], s21, v51, v[50:51]
	v_add_co_u32_e64 v61, s[0:1], v67, v48
	v_addc_co_u32_e64 v62, s[0:1], v68, v49, s[0:1]
	global_load_dwordx4 v[48:51], v[65:66], off
	global_load_dwordx4 v[52:55], v[61:62], off
	v_mov_b32_e32 v64, v60
	v_lshlrev_b64 v[60:61], 4, v[63:64]
	v_lshl_add_u32 v64, v100, 4, 0
	v_add_co_u32_e64 v60, s[0:1], v67, v60
	v_addc_co_u32_e64 v61, s[0:1], v68, v61, s[0:1]
	global_load_dwordx4 v[60:63], v[60:61], off
	s_waitcnt vmcnt(14)
	ds_write_b128 v64, v[0:3]
	s_waitcnt vmcnt(13)
	ds_write_b128 v64, v[4:7] offset:880
	s_waitcnt vmcnt(12)
	ds_write_b128 v64, v[8:11] offset:1760
	;; [unrolled: 2-line block ×14, first 2 shown]
.LBB0_13:
	s_or_b64 exec, exec, s[6:7]
	v_lshl_add_u32 v101, v100, 4, 0
	s_load_dwordx2 s[4:5], s[4:5], 0x0
	s_waitcnt lgkmcnt(0)
	; wave barrier
	s_waitcnt lgkmcnt(0)
	ds_read_b128 v[48:51], v101 offset:1200
	ds_read_b128 v[44:47], v101
	ds_read_b128 v[0:3], v101 offset:880
	ds_read_b128 v[4:7], v101 offset:2080
	;; [unrolled: 1-line block ×4, first 2 shown]
	s_waitcnt lgkmcnt(4)
	v_add_f64 v[12:13], v[44:45], v[48:49]
	v_add_f64 v[14:15], v[46:47], v[50:51]
	ds_read_b128 v[36:39], v101 offset:3600
	ds_read_b128 v[32:35], v101 offset:4800
	;; [unrolled: 1-line block ×4, first 2 shown]
	s_mov_b32 s14, 0x8eee2c13
	s_mov_b32 s15, 0xbfed1bb4
	s_waitcnt lgkmcnt(5)
	v_add_f64 v[16:17], v[12:13], v[52:53]
	v_add_f64 v[18:19], v[14:15], v[54:55]
	ds_read_b128 v[12:15], v101 offset:4480
	s_mov_b32 s6, 0xf8bb580b
	s_mov_b32 s18, 0xd9c712b6
	;; [unrolled: 1-line block ×5, first 2 shown]
	s_waitcnt lgkmcnt(4)
	v_add_f64 v[16:17], v[16:17], v[36:37]
	v_add_f64 v[18:19], v[18:19], v[38:39]
	s_mov_b32 s7, 0xbfe14ced
	s_mov_b32 s19, 0x3fda9628
	;; [unrolled: 1-line block ×6, first 2 shown]
	s_waitcnt lgkmcnt(3)
	v_add_f64 v[24:25], v[16:17], v[32:33]
	v_add_f64 v[26:27], v[18:19], v[34:35]
	ds_read_b128 v[16:19], v101 offset:6880
	ds_read_b128 v[40:43], v101 offset:7200
	s_mov_b32 s20, 0x640f44db
	s_mov_b32 s28, 0x7f775887
	;; [unrolled: 1-line block ×4, first 2 shown]
	s_waitcnt lgkmcnt(0)
	v_add_f64 v[76:77], v[28:29], v[40:41]
	v_add_f64 v[68:69], v[24:25], v[28:29]
	;; [unrolled: 1-line block ×4, first 2 shown]
	v_add_f64 v[80:81], v[28:29], -v[40:41]
	v_add_f64 v[82:83], v[30:31], -v[42:43]
	ds_read_b128 v[60:63], v101 offset:10800
	ds_read_b128 v[24:27], v101 offset:8080
	;; [unrolled: 1-line block ×4, first 2 shown]
	v_add_f64 v[40:41], v[68:69], v[40:41]
	v_add_f64 v[42:43], v[70:71], v[42:43]
	ds_read_b128 v[68:71], v101 offset:9600
	s_waitcnt lgkmcnt(2)
	v_add_f64 v[84:85], v[32:33], v[64:65]
	v_add_f64 v[86:87], v[34:35], v[66:67]
	v_add_f64 v[88:89], v[32:33], -v[64:65]
	v_add_f64 v[90:91], v[34:35], -v[66:67]
	ds_read_b128 v[32:35], v101 offset:10480
	v_add_f64 v[64:65], v[40:41], v[64:65]
	v_add_f64 v[66:67], v[42:43], v[66:67]
	ds_read_b128 v[72:75], v101 offset:12000
	ds_read_b128 v[40:43], v101 offset:11680
	v_add_f64 v[105:106], v[52:53], v[60:61]
	v_add_f64 v[109:110], v[52:53], -v[60:61]
	s_waitcnt lgkmcnt(3)
	v_add_f64 v[92:93], v[36:37], v[68:69]
	s_waitcnt lgkmcnt(1)
	v_add_f64 v[103:104], v[50:51], -v[74:75]
	v_add_f64 v[52:53], v[64:65], v[68:69]
	v_add_f64 v[64:65], v[66:67], v[70:71]
	;; [unrolled: 1-line block ×3, first 2 shown]
	v_add_f64 v[96:97], v[36:37], -v[68:69]
	v_add_f64 v[98:99], v[38:39], -v[70:71]
	v_add_f64 v[107:108], v[54:55], v[62:63]
	v_add_f64 v[111:112], v[54:55], -v[62:63]
	v_add_f64 v[54:55], v[48:49], v[72:73]
	v_add_f64 v[68:69], v[50:51], v[74:75]
	v_mul_f64 v[50:51], v[103:104], s[14:15]
	v_add_f64 v[70:71], v[48:49], -v[72:73]
	v_add_f64 v[48:49], v[52:53], v[60:61]
	v_add_f64 v[52:53], v[64:65], v[62:63]
	v_mul_f64 v[66:67], v[103:104], s[6:7]
	v_mul_f64 v[60:61], v[103:104], s[16:17]
	;; [unrolled: 1-line block ×3, first 2 shown]
	s_mov_b32 s21, 0xbfc2375f
	v_fma_f64 v[113:114], v[54:55], s[18:19], -v[50:51]
	v_fma_f64 v[115:116], v[54:55], s[18:19], v[50:51]
	s_mov_b32 s29, 0xbfe4f49e
	v_add_f64 v[50:51], v[52:53], v[74:75]
	v_mul_f64 v[52:53], v[103:104], s[24:25]
	v_mul_f64 v[103:104], v[70:71], s[6:7]
	s_mov_b32 s27, 0xbfeeb42a
	v_fma_f64 v[64:65], v[54:55], s[8:9], -v[66:67]
	v_fma_f64 v[66:67], v[54:55], s[8:9], v[66:67]
	v_add_f64 v[48:49], v[48:49], v[72:73]
	v_fma_f64 v[72:73], v[54:55], s[20:21], -v[60:61]
	v_fma_f64 v[60:61], v[54:55], s[20:21], v[60:61]
	v_fma_f64 v[74:75], v[54:55], s[28:29], -v[62:63]
	v_fma_f64 v[62:63], v[54:55], s[28:29], v[62:63]
	v_mul_f64 v[117:118], v[70:71], s[14:15]
	v_fma_f64 v[119:120], v[54:55], s[26:27], -v[52:53]
	v_mul_f64 v[121:122], v[70:71], s[16:17]
	v_fma_f64 v[52:53], v[54:55], s[26:27], v[52:53]
	v_mul_f64 v[54:55], v[70:71], s[22:23]
	v_mul_f64 v[70:71], v[70:71], s[24:25]
	v_fma_f64 v[123:124], v[68:69], s[8:9], v[103:104]
	v_fma_f64 v[103:104], v[68:69], s[8:9], -v[103:104]
	v_fma_f64 v[125:126], v[68:69], s[18:19], v[117:118]
	v_fma_f64 v[117:118], v[68:69], s[18:19], -v[117:118]
	;; [unrolled: 2-line block ×5, first 2 shown]
	v_add_f64 v[70:71], v[46:47], v[123:124]
	v_mul_f64 v[123:124], v[111:112], s[14:15]
	v_add_f64 v[64:65], v[44:45], v[64:65]
	v_mul_f64 v[133:134], v[109:110], s[14:15]
	v_mul_f64 v[137:138], v[98:99], s[16:17]
	v_add_f64 v[139:140], v[44:45], v[60:61]
	v_mul_f64 v[141:142], v[96:97], s[16:17]
	v_mul_f64 v[143:144], v[90:91], s[22:23]
	v_add_f64 v[145:146], v[44:45], v[62:63]
	v_fma_f64 v[135:136], v[105:106], s[18:19], -v[123:124]
	v_add_f64 v[66:67], v[44:45], v[66:67]
	v_fma_f64 v[60:61], v[107:108], s[18:19], v[133:134]
	v_add_f64 v[103:104], v[46:47], v[103:104]
	v_add_f64 v[113:114], v[44:45], v[113:114]
	v_fma_f64 v[62:63], v[94:95], s[20:21], v[141:142]
	v_add_f64 v[115:116], v[44:45], v[115:116]
	v_add_f64 v[72:73], v[44:45], v[72:73]
	;; [unrolled: 1-line block ×3, first 2 shown]
	v_fma_f64 v[135:136], v[92:93], s[20:21], -v[137:138]
	v_add_f64 v[60:61], v[60:61], v[70:71]
	v_mul_f64 v[70:71], v[88:89], s[22:23]
	v_add_f64 v[74:75], v[44:45], v[74:75]
	v_add_f64 v[149:150], v[46:47], v[54:55]
	;; [unrolled: 1-line block ×4, first 2 shown]
	s_mov_b32 s31, 0x3fd207e7
	v_add_f64 v[64:65], v[135:136], v[64:65]
	v_fma_f64 v[135:136], v[84:85], s[28:29], -v[143:144]
	v_add_f64 v[54:55], v[62:63], v[60:61]
	v_fma_f64 v[60:61], v[86:87], s[28:29], v[70:71]
	v_fma_f64 v[62:63], v[105:106], s[18:19], v[123:124]
	s_mov_b32 s30, s24
	v_add_f64 v[125:126], v[46:47], v[125:126]
	v_add_f64 v[117:118], v[46:47], v[117:118]
	;; [unrolled: 1-line block ×4, first 2 shown]
	v_fma_f64 v[64:65], v[107:108], s[18:19], -v[133:134]
	v_add_f64 v[133:134], v[46:47], v[68:69]
	v_mul_f64 v[68:69], v[111:112], s[22:23]
	v_mul_f64 v[135:136], v[109:110], s[22:23]
	v_add_f64 v[121:122], v[46:47], v[121:122]
	v_add_f64 v[129:130], v[46:47], v[129:130]
	;; [unrolled: 1-line block ×3, first 2 shown]
	v_mul_f64 v[52:53], v[80:81], s[24:25]
	v_add_f64 v[46:47], v[60:61], v[54:55]
	v_add_f64 v[60:61], v[62:63], v[66:67]
	;; [unrolled: 1-line block ×3, first 2 shown]
	v_fma_f64 v[64:65], v[92:93], s[20:21], v[137:138]
	v_fma_f64 v[66:67], v[94:95], s[20:21], -v[141:142]
	v_fma_f64 v[103:104], v[105:106], s[28:29], -v[68:69]
	v_fma_f64 v[137:138], v[107:108], s[28:29], v[135:136]
	v_mul_f64 v[141:142], v[98:99], s[30:31]
	s_mov_b32 s35, 0x3fefac9e
	s_mov_b32 s34, s16
	v_fma_f64 v[54:55], v[78:79], s[26:27], v[52:53]
	v_mul_f64 v[153:154], v[96:97], s[30:31]
	v_add_f64 v[60:61], v[64:65], v[60:61]
	v_add_f64 v[62:63], v[66:67], v[62:63]
	v_fma_f64 v[64:65], v[84:85], s[28:29], v[143:144]
	v_fma_f64 v[66:67], v[86:87], s[28:29], -v[70:71]
	v_add_f64 v[70:71], v[103:104], v[113:114]
	v_add_f64 v[103:104], v[137:138], v[125:126]
	v_fma_f64 v[113:114], v[92:93], s[26:27], -v[141:142]
	v_mul_f64 v[137:138], v[90:91], s[34:35]
	v_mul_f64 v[147:148], v[82:83], s[24:25]
	v_fma_f64 v[125:126], v[94:95], s[26:27], v[153:154]
	v_mul_f64 v[143:144], v[88:89], s[34:35]
	v_add_f64 v[46:47], v[54:55], v[46:47]
	v_add_f64 v[54:55], v[64:65], v[60:61]
	;; [unrolled: 1-line block ×4, first 2 shown]
	v_fma_f64 v[66:67], v[84:85], s[20:21], -v[137:138]
	v_fma_f64 v[68:69], v[105:106], s[28:29], v[68:69]
	v_fma_f64 v[123:124], v[76:77], s[26:27], -v[147:148]
	v_add_f64 v[64:65], v[125:126], v[103:104]
	v_fma_f64 v[70:71], v[86:87], s[20:21], v[143:144]
	v_fma_f64 v[113:114], v[107:108], s[28:29], -v[135:136]
	s_mov_b32 s39, 0x3fe14ced
	s_mov_b32 s38, s6
	v_add_f64 v[62:63], v[66:67], v[62:63]
	v_add_f64 v[66:67], v[68:69], v[115:116]
	v_fma_f64 v[68:69], v[92:93], s[26:27], v[141:142]
	v_add_f64 v[44:45], v[123:124], v[44:45]
	v_mul_f64 v[103:104], v[82:83], s[38:39]
	v_mul_f64 v[123:124], v[80:81], s[38:39]
	v_fma_f64 v[125:126], v[76:77], s[26:27], v[147:148]
	v_fma_f64 v[135:136], v[78:79], s[26:27], -v[52:53]
	v_add_f64 v[64:65], v[70:71], v[64:65]
	v_add_f64 v[70:71], v[113:114], v[117:118]
	v_fma_f64 v[113:114], v[94:95], s[26:27], -v[153:154]
	v_mul_f64 v[141:142], v[111:112], s[30:31]
	v_add_f64 v[66:67], v[68:69], v[66:67]
	v_mul_f64 v[68:69], v[109:110], s[30:31]
	s_mov_b32 s41, 0x3fed1bb4
	s_mov_b32 s40, s14
	v_fma_f64 v[115:116], v[76:77], s[8:9], -v[103:104]
	v_fma_f64 v[117:118], v[78:79], s[8:9], v[123:124]
	v_add_f64 v[52:53], v[125:126], v[54:55]
	v_add_f64 v[54:55], v[135:136], v[60:61]
	;; [unrolled: 1-line block ×3, first 2 shown]
	v_fma_f64 v[113:114], v[84:85], s[20:21], v[137:138]
	v_fma_f64 v[125:126], v[86:87], s[20:21], -v[143:144]
	v_fma_f64 v[135:136], v[105:106], s[26:27], -v[141:142]
	v_mul_f64 v[137:138], v[98:99], s[40:41]
	v_fma_f64 v[143:144], v[107:108], s[26:27], v[68:69]
	v_mul_f64 v[147:148], v[96:97], s[40:41]
	v_add_f64 v[60:61], v[115:116], v[62:63]
	v_add_f64 v[62:63], v[117:118], v[64:65]
	;; [unrolled: 1-line block ×5, first 2 shown]
	v_fma_f64 v[72:73], v[92:93], s[18:19], -v[137:138]
	v_add_f64 v[113:114], v[143:144], v[127:128]
	v_fma_f64 v[115:116], v[94:95], s[18:19], v[147:148]
	v_mul_f64 v[117:118], v[90:91], s[6:7]
	v_mul_f64 v[125:126], v[88:89], s[6:7]
	v_fma_f64 v[127:128], v[105:106], s[26:27], v[141:142]
	v_fma_f64 v[103:104], v[76:77], s[8:9], v[103:104]
	v_fma_f64 v[123:124], v[78:79], s[8:9], -v[123:124]
	v_add_f64 v[70:71], v[72:73], v[70:71]
	v_fma_f64 v[68:69], v[107:108], s[26:27], -v[68:69]
	v_add_f64 v[72:73], v[115:116], v[113:114]
	v_fma_f64 v[113:114], v[84:85], s[8:9], -v[117:118]
	v_fma_f64 v[115:116], v[86:87], s[8:9], v[125:126]
	v_mul_f64 v[135:136], v[82:83], s[22:23]
	v_add_f64 v[127:128], v[127:128], v[139:140]
	v_mul_f64 v[139:140], v[80:81], s[22:23]
	v_fma_f64 v[137:138], v[92:93], s[18:19], v[137:138]
	v_add_f64 v[64:65], v[103:104], v[64:65]
	v_add_f64 v[68:69], v[68:69], v[121:122]
	v_fma_f64 v[103:104], v[94:95], s[18:19], -v[147:148]
	v_add_f64 v[70:71], v[113:114], v[70:71]
	v_add_f64 v[72:73], v[115:116], v[72:73]
	v_fma_f64 v[113:114], v[76:77], s[28:29], -v[135:136]
	v_fma_f64 v[115:116], v[78:79], s[28:29], v[139:140]
	v_add_f64 v[121:122], v[137:138], v[127:128]
	v_fma_f64 v[117:118], v[84:85], s[8:9], v[117:118]
	v_add_f64 v[66:67], v[123:124], v[66:67]
	v_mul_f64 v[123:124], v[111:112], s[34:35]
	v_mul_f64 v[127:128], v[109:110], s[34:35]
	v_add_f64 v[103:104], v[103:104], v[68:69]
	v_fma_f64 v[125:126], v[86:87], s[8:9], -v[125:126]
	v_add_f64 v[68:69], v[113:114], v[70:71]
	v_add_f64 v[70:71], v[115:116], v[72:73]
	;; [unrolled: 1-line block ×3, first 2 shown]
	v_fma_f64 v[113:114], v[76:77], s[28:29], v[135:136]
	v_fma_f64 v[115:116], v[105:106], s[20:21], -v[123:124]
	v_fma_f64 v[117:118], v[107:108], s[20:21], v[127:128]
	v_mul_f64 v[121:122], v[98:99], s[6:7]
	v_mul_f64 v[135:136], v[96:97], s[6:7]
	v_fma_f64 v[123:124], v[105:106], s[20:21], v[123:124]
	v_fma_f64 v[127:128], v[107:108], s[20:21], -v[127:128]
	v_add_f64 v[103:104], v[125:126], v[103:104]
	v_fma_f64 v[125:126], v[78:79], s[28:29], -v[139:140]
	v_add_f64 v[74:75], v[115:116], v[74:75]
	v_add_f64 v[115:116], v[117:118], v[129:130]
	v_fma_f64 v[117:118], v[92:93], s[8:9], -v[121:122]
	v_mul_f64 v[137:138], v[90:91], s[24:25]
	v_add_f64 v[123:124], v[123:124], v[145:146]
	v_fma_f64 v[121:122], v[92:93], s[8:9], v[121:122]
	v_add_f64 v[72:73], v[113:114], v[72:73]
	v_add_f64 v[113:114], v[127:128], v[149:150]
	v_fma_f64 v[127:128], v[94:95], s[8:9], -v[135:136]
	v_mul_f64 v[111:112], v[111:112], s[38:39]
	v_mul_f64 v[109:110], v[109:110], s[38:39]
	;; [unrolled: 1-line block ×3, first 2 shown]
	v_add_f64 v[117:118], v[117:118], v[74:75]
	v_add_f64 v[121:122], v[121:122], v[123:124]
	v_fma_f64 v[123:124], v[84:85], s[26:27], v[137:138]
	v_add_f64 v[74:75], v[125:126], v[103:104]
	v_add_f64 v[103:104], v[127:128], v[113:114]
	v_fma_f64 v[125:126], v[105:106], s[8:9], -v[111:112]
	v_fma_f64 v[127:128], v[107:108], s[8:9], v[109:110]
	v_mul_f64 v[98:99], v[98:99], s[22:23]
	v_mul_f64 v[96:97], v[96:97], s[22:23]
	v_fma_f64 v[105:106], v[105:106], s[8:9], v[111:112]
	v_fma_f64 v[107:108], v[107:108], s[8:9], -v[109:110]
	v_fma_f64 v[129:130], v[94:95], s[8:9], v[135:136]
	v_fma_f64 v[113:114], v[86:87], s[26:27], -v[139:140]
	v_add_f64 v[121:122], v[123:124], v[121:122]
	v_add_f64 v[109:110], v[125:126], v[119:120]
	;; [unrolled: 1-line block ×3, first 2 shown]
	v_fma_f64 v[119:120], v[92:93], s[28:29], -v[98:99]
	v_fma_f64 v[123:124], v[94:95], s[28:29], v[96:97]
	v_add_f64 v[105:106], v[105:106], v[151:152]
	v_add_f64 v[107:108], v[107:108], v[133:134]
	v_fma_f64 v[92:93], v[92:93], s[28:29], v[98:99]
	v_mul_f64 v[90:91], v[90:91], s[40:41]
	v_fma_f64 v[94:95], v[94:95], s[28:29], -v[96:97]
	v_mul_f64 v[88:89], v[88:89], s[40:41]
	v_add_f64 v[115:116], v[129:130], v[115:116]
	v_fma_f64 v[129:130], v[84:85], s[26:27], -v[137:138]
	v_fma_f64 v[135:136], v[86:87], s[26:27], v[139:140]
	v_add_f64 v[103:104], v[113:114], v[103:104]
	v_mul_f64 v[113:114], v[82:83], s[40:41]
	v_add_f64 v[96:97], v[119:120], v[109:110]
	v_add_f64 v[109:110], v[123:124], v[111:112]
	v_mul_f64 v[111:112], v[80:81], s[40:41]
	v_add_f64 v[92:93], v[92:93], v[105:106]
	v_fma_f64 v[105:106], v[84:85], s[18:19], -v[90:91]
	v_add_f64 v[94:95], v[94:95], v[107:108]
	v_fma_f64 v[107:108], v[86:87], s[18:19], v[88:89]
	v_mul_f64 v[82:83], v[82:83], s[16:17]
	v_mul_f64 v[80:81], v[80:81], s[16:17]
	v_fma_f64 v[84:85], v[84:85], s[18:19], v[90:91]
	v_fma_f64 v[86:87], v[86:87], s[18:19], -v[88:89]
	v_add_f64 v[117:118], v[129:130], v[117:118]
	v_add_f64 v[115:116], v[135:136], v[115:116]
	v_fma_f64 v[98:99], v[76:77], s[18:19], -v[113:114]
	v_fma_f64 v[90:91], v[78:79], s[18:19], v[111:112]
	v_add_f64 v[96:97], v[105:106], v[96:97]
	v_add_f64 v[105:106], v[107:108], v[109:110]
	v_fma_f64 v[107:108], v[76:77], s[20:21], -v[82:83]
	v_fma_f64 v[109:110], v[78:79], s[20:21], v[80:81]
	v_fma_f64 v[88:89], v[76:77], s[18:19], v[113:114]
	v_add_f64 v[92:93], v[84:85], v[92:93]
	v_add_f64 v[94:95], v[86:87], v[94:95]
	v_fma_f64 v[113:114], v[76:77], s[20:21], v[82:83]
	v_fma_f64 v[119:120], v[78:79], s[20:21], -v[80:81]
	v_fma_f64 v[111:112], v[78:79], s[18:19], -v[111:112]
	ds_read_b128 v[36:39], v101 offset:12880
	v_add_f64 v[76:77], v[98:99], v[117:118]
	v_add_f64 v[78:79], v[90:91], v[115:116]
	;; [unrolled: 1-line block ×7, first 2 shown]
	s_movk_i32 s0, 0xa0
	v_add_f64 v[82:83], v[111:112], v[103:104]
	v_mad_u32_u24 v103, v100, s0, v101
	v_cmp_gt_u32_e64 s[0:1], 20, v100
	s_waitcnt lgkmcnt(0)
	; wave barrier
	s_waitcnt lgkmcnt(0)
	ds_write_b128 v103, v[48:51]
	ds_write_b128 v103, v[44:47] offset:16
	ds_write_b128 v103, v[60:63] offset:32
	;; [unrolled: 1-line block ×10, first 2 shown]
	s_and_saveexec_b64 s[36:37], s[0:1]
	s_cbranch_execz .LBB0_15
; %bb.14:
	v_add_f64 v[98:99], v[6:7], v[38:39]
	v_add_f64 v[96:97], v[10:11], v[42:43]
	v_add_f64 v[66:67], v[4:5], -v[36:37]
	v_add_f64 v[84:85], v[6:7], -v[38:39]
	v_add_f64 v[94:95], v[14:15], v[34:35]
	v_add_f64 v[70:71], v[8:9], -v[40:41]
	v_add_f64 v[82:83], v[10:11], -v[42:43]
	v_add_f64 v[74:75], v[4:5], v[36:37]
	v_mul_f64 v[44:45], v[98:99], s[26:27]
	v_mul_f64 v[46:47], v[96:97], s[8:9]
	v_add_f64 v[92:93], v[22:23], v[30:31]
	v_mul_f64 v[50:51], v[84:85], s[24:25]
	v_add_f64 v[64:65], v[12:13], -v[32:33]
	v_add_f64 v[80:81], v[14:15], -v[34:35]
	v_mul_f64 v[52:53], v[94:95], s[28:29]
	v_add_f64 v[76:77], v[8:9], v[40:41]
	v_fma_f64 v[48:49], v[66:67], s[30:31], v[44:45]
	v_fma_f64 v[54:55], v[70:71], s[6:7], v[46:47]
	v_mul_f64 v[104:105], v[82:83], s[38:39]
	v_fma_f64 v[86:87], v[74:75], s[26:27], v[50:51]
	s_mov_b32 s1, 0x3fe82f19
	s_mov_b32 s0, s22
	v_add_f64 v[90:91], v[18:19], v[26:27]
	v_add_f64 v[62:63], v[20:21], -v[28:29]
	v_add_f64 v[48:49], v[2:3], v[48:49]
	v_add_f64 v[88:89], v[22:23], -v[30:31]
	v_add_f64 v[72:73], v[12:13], v[32:33]
	v_mul_f64 v[106:107], v[92:93], s[18:19]
	v_fma_f64 v[108:109], v[64:65], s[0:1], v[52:53]
	v_fma_f64 v[110:111], v[76:77], s[8:9], v[104:105]
	;; [unrolled: 1-line block ×3, first 2 shown]
	v_add_f64 v[86:87], v[0:1], v[86:87]
	v_add_f64 v[48:49], v[54:55], v[48:49]
	v_mul_f64 v[54:55], v[80:81], s[22:23]
	v_add_f64 v[60:61], v[16:17], -v[24:25]
	v_add_f64 v[68:69], v[20:21], v[28:29]
	v_mul_f64 v[112:113], v[90:91], s[20:21]
	v_mul_f64 v[114:115], v[88:89], s[40:41]
	v_fma_f64 v[116:117], v[62:63], s[14:15], v[106:107]
	v_fma_f64 v[46:47], v[70:71], s[38:39], v[46:47]
	v_add_f64 v[48:49], v[108:109], v[48:49]
	v_fma_f64 v[108:109], v[72:73], s[28:29], v[54:55]
	v_add_f64 v[44:45], v[2:3], v[44:45]
	v_add_f64 v[110:111], v[110:111], v[86:87]
	v_fma_f64 v[120:121], v[60:61], s[34:35], v[112:113]
	v_fma_f64 v[52:53], v[64:65], s[22:23], v[52:53]
	;; [unrolled: 1-line block ×3, first 2 shown]
	v_fma_f64 v[104:105], v[76:77], s[8:9], -v[104:105]
	v_add_f64 v[48:49], v[116:117], v[48:49]
	v_fma_f64 v[116:117], v[68:69], s[18:19], v[114:115]
	v_add_f64 v[44:45], v[46:47], v[44:45]
	v_add_f64 v[108:109], v[108:109], v[110:111]
	v_mul_f64 v[110:111], v[98:99], s[28:29]
	v_mul_f64 v[124:125], v[94:95], s[8:9]
	v_add_f64 v[78:79], v[18:19], -v[26:27]
	v_mul_f64 v[130:131], v[92:93], s[26:27]
	v_add_f64 v[46:47], v[120:121], v[48:49]
	v_fma_f64 v[48:49], v[74:75], s[26:27], -v[50:51]
	v_add_f64 v[44:45], v[52:53], v[44:45]
	v_add_f64 v[50:51], v[116:117], v[108:109]
	v_mul_f64 v[108:109], v[84:85], s[22:23]
	v_fma_f64 v[52:53], v[60:61], s[16:17], v[112:113]
	v_mul_f64 v[112:113], v[96:97], s[20:21]
	v_fma_f64 v[116:117], v[66:67], s[0:1], v[110:111]
	v_mul_f64 v[120:121], v[82:83], s[34:35]
	v_add_f64 v[48:49], v[0:1], v[48:49]
	v_add_f64 v[106:107], v[106:107], v[44:45]
	v_fma_f64 v[44:45], v[72:73], s[28:29], -v[54:55]
	v_fma_f64 v[54:55], v[74:75], s[28:29], v[108:109]
	v_fma_f64 v[132:133], v[64:65], s[38:39], v[124:125]
	;; [unrolled: 1-line block ×3, first 2 shown]
	v_add_f64 v[116:117], v[2:3], v[116:117]
	v_fma_f64 v[128:129], v[76:77], s[20:21], v[120:121]
	v_add_f64 v[48:49], v[104:105], v[48:49]
	v_fma_f64 v[104:105], v[68:69], s[18:19], -v[114:115]
	v_mul_f64 v[114:115], v[80:81], s[6:7]
	v_add_f64 v[54:55], v[0:1], v[54:55]
	v_add_f64 v[86:87], v[16:17], v[24:25]
	v_mul_f64 v[118:119], v[78:79], s[16:17]
	v_add_f64 v[116:117], v[126:127], v[116:117]
	v_mul_f64 v[126:127], v[88:89], s[24:25]
	v_add_f64 v[44:45], v[44:45], v[48:49]
	v_fma_f64 v[48:49], v[66:67], s[22:23], v[110:111]
	v_fma_f64 v[110:111], v[72:73], s[8:9], v[114:115]
	v_add_f64 v[54:55], v[128:129], v[54:55]
	v_mul_f64 v[128:129], v[90:91], s[18:19]
	v_fma_f64 v[134:135], v[62:63], s[30:31], v[130:131]
	v_add_f64 v[116:117], v[132:133], v[116:117]
	v_mul_f64 v[132:133], v[78:79], s[40:41]
	v_fma_f64 v[112:113], v[70:71], s[34:35], v[112:113]
	v_add_f64 v[48:49], v[2:3], v[48:49]
	v_fma_f64 v[136:137], v[68:69], s[26:27], v[126:127]
	v_add_f64 v[54:55], v[110:111], v[54:55]
	v_fma_f64 v[122:123], v[86:87], s[20:21], v[118:119]
	v_fma_f64 v[110:111], v[86:87], s[20:21], -v[118:119]
	v_add_f64 v[104:105], v[104:105], v[44:45]
	v_fma_f64 v[118:119], v[60:61], s[14:15], v[128:129]
	v_add_f64 v[116:117], v[134:135], v[116:117]
	v_fma_f64 v[124:125], v[64:65], s[6:7], v[124:125]
	;; [unrolled: 2-line block ×3, first 2 shown]
	v_add_f64 v[134:135], v[136:137], v[54:55]
	v_add_f64 v[54:55], v[52:53], v[106:107]
	v_mul_f64 v[106:107], v[98:99], s[20:21]
	v_add_f64 v[44:45], v[122:123], v[50:51]
	v_add_f64 v[52:53], v[110:111], v[104:105]
	v_fma_f64 v[104:105], v[62:63], s[24:25], v[130:131]
	v_add_f64 v[110:111], v[124:125], v[48:49]
	v_add_f64 v[50:51], v[118:119], v[116:117]
	;; [unrolled: 1-line block ×3, first 2 shown]
	v_mul_f64 v[112:113], v[84:85], s[16:17]
	v_fma_f64 v[108:109], v[74:75], s[28:29], -v[108:109]
	v_mul_f64 v[118:119], v[96:97], s[26:27]
	v_fma_f64 v[122:123], v[66:67], s[34:35], v[106:107]
	v_fma_f64 v[116:117], v[60:61], s[40:41], v[128:129]
	v_add_f64 v[104:105], v[104:105], v[110:111]
	v_fma_f64 v[110:111], v[76:77], s[20:21], -v[120:121]
	v_mul_f64 v[120:121], v[82:83], s[30:31]
	v_fma_f64 v[124:125], v[74:75], s[20:21], v[112:113]
	v_add_f64 v[108:109], v[0:1], v[108:109]
	v_mul_f64 v[128:129], v[94:95], s[18:19]
	v_fma_f64 v[130:131], v[70:71], s[24:25], v[118:119]
	v_add_f64 v[122:123], v[2:3], v[122:123]
	v_fma_f64 v[114:115], v[72:73], s[8:9], -v[114:115]
	v_mul_f64 v[134:135], v[80:81], s[40:41]
	v_fma_f64 v[136:137], v[76:77], s[26:27], v[120:121]
	v_add_f64 v[124:125], v[0:1], v[124:125]
	v_add_f64 v[108:109], v[110:111], v[108:109]
	v_mul_f64 v[138:139], v[92:93], s[8:9]
	v_fma_f64 v[110:111], v[64:65], s[14:15], v[128:129]
	v_add_f64 v[122:123], v[130:131], v[122:123]
	v_fma_f64 v[126:127], v[68:69], s[26:27], -v[126:127]
	v_mul_f64 v[130:131], v[88:89], s[6:7]
	v_fma_f64 v[140:141], v[72:73], s[18:19], v[134:135]
	v_add_f64 v[124:125], v[136:137], v[124:125]
	v_add_f64 v[108:109], v[114:115], v[108:109]
	v_mul_f64 v[114:115], v[90:91], s[28:29]
	v_fma_f64 v[136:137], v[62:63], s[38:39], v[138:139]
	v_add_f64 v[110:111], v[110:111], v[122:123]
	v_fma_f64 v[106:107], v[66:67], s[16:17], v[106:107]
	v_mul_f64 v[122:123], v[78:79], s[22:23]
	v_fma_f64 v[142:143], v[68:69], s[8:9], v[130:131]
	v_add_f64 v[124:125], v[140:141], v[124:125]
	v_fma_f64 v[132:133], v[86:87], s[18:19], -v[132:133]
	v_add_f64 v[108:109], v[126:127], v[108:109]
	v_fma_f64 v[126:127], v[60:61], s[0:1], v[114:115]
	v_add_f64 v[110:111], v[136:137], v[110:111]
	v_add_f64 v[136:137], v[2:3], v[106:107]
	v_add_f64 v[106:107], v[116:117], v[104:105]
	v_mul_f64 v[116:117], v[98:99], s[18:19]
	v_fma_f64 v[118:119], v[70:71], s[30:31], v[118:119]
	v_fma_f64 v[140:141], v[86:87], s[28:29], v[122:123]
	v_add_f64 v[124:125], v[142:143], v[124:125]
	v_add_f64 v[104:105], v[132:133], v[108:109]
	v_fma_f64 v[112:113], v[74:75], s[20:21], -v[112:113]
	v_add_f64 v[110:111], v[126:127], v[110:111]
	v_mul_f64 v[126:127], v[96:97], s[28:29]
	v_fma_f64 v[132:133], v[66:67], s[40:41], v[116:117]
	v_add_f64 v[118:119], v[118:119], v[136:137]
	v_fma_f64 v[120:121], v[76:77], s[26:27], -v[120:121]
	v_add_f64 v[108:109], v[140:141], v[124:125]
	v_fma_f64 v[124:125], v[62:63], s[6:7], v[138:139]
	v_add_f64 v[112:113], v[0:1], v[112:113]
	v_mul_f64 v[136:137], v[94:95], s[26:27]
	v_fma_f64 v[138:139], v[70:71], s[0:1], v[126:127]
	v_add_f64 v[132:133], v[2:3], v[132:133]
	v_fma_f64 v[128:129], v[64:65], s[40:41], v[128:129]
	v_fma_f64 v[134:135], v[72:73], s[18:19], -v[134:135]
	v_mul_f64 v[140:141], v[92:93], s[20:21]
	v_fma_f64 v[130:131], v[68:69], s[8:9], -v[130:131]
	v_add_f64 v[112:113], v[120:121], v[112:113]
	v_fma_f64 v[142:143], v[64:65], s[24:25], v[136:137]
	v_mul_f64 v[144:145], v[90:91], s[8:9]
	v_add_f64 v[132:133], v[138:139], v[132:133]
	v_add_f64 v[118:119], v[128:129], v[118:119]
	v_mul_f64 v[128:129], v[84:85], s[14:15]
	v_fma_f64 v[146:147], v[62:63], s[16:17], v[140:141]
	v_add_f64 v[6:7], v[2:3], v[6:7]
	v_add_f64 v[112:113], v[134:135], v[112:113]
	;; [unrolled: 1-line block ×3, first 2 shown]
	v_fma_f64 v[114:115], v[60:61], s[22:23], v[114:115]
	v_add_f64 v[132:133], v[142:143], v[132:133]
	v_add_f64 v[118:119], v[124:125], v[118:119]
	v_mul_f64 v[120:121], v[82:83], s[22:23]
	v_fma_f64 v[124:125], v[74:75], s[18:19], v[128:129]
	v_fma_f64 v[128:129], v[74:75], s[18:19], -v[128:129]
	v_add_f64 v[112:113], v[130:131], v[112:113]
	v_fma_f64 v[130:131], v[60:61], s[6:7], v[144:145]
	v_mul_f64 v[98:99], v[98:99], s[8:9]
	v_add_f64 v[132:133], v[146:147], v[132:133]
	v_add_f64 v[6:7], v[6:7], v[10:11]
	;; [unrolled: 1-line block ×3, first 2 shown]
	v_fma_f64 v[138:139], v[76:77], s[28:29], v[120:121]
	v_add_f64 v[114:115], v[114:115], v[118:119]
	v_fma_f64 v[120:121], v[76:77], s[28:29], -v[120:121]
	v_add_f64 v[128:129], v[0:1], v[128:129]
	v_mul_f64 v[96:97], v[96:97], s[18:19]
	v_add_f64 v[118:119], v[130:131], v[132:133]
	v_fma_f64 v[132:133], v[66:67], s[38:39], v[98:99]
	v_add_f64 v[6:7], v[6:7], v[14:15]
	v_add_f64 v[8:9], v[8:9], v[12:13]
	v_mul_f64 v[94:95], v[94:95], s[20:21]
	v_fma_f64 v[116:117], v[66:67], s[14:15], v[116:117]
	v_add_f64 v[120:121], v[120:121], v[128:129]
	v_fma_f64 v[10:11], v[70:71], s[40:41], v[96:97]
	v_add_f64 v[124:125], v[0:1], v[124:125]
	v_add_f64 v[128:129], v[2:3], v[132:133]
	;; [unrolled: 1-line block ×4, first 2 shown]
	v_fma_f64 v[12:13], v[64:65], s[34:35], v[94:95]
	v_mul_f64 v[20:21], v[84:85], s[6:7]
	v_fma_f64 v[122:123], v[86:87], s[28:29], -v[122:123]
	v_fma_f64 v[126:127], v[70:71], s[22:23], v[126:127]
	v_add_f64 v[116:117], v[2:3], v[116:117]
	v_add_f64 v[10:11], v[10:11], v[128:129]
	;; [unrolled: 1-line block ×5, first 2 shown]
	v_mul_f64 v[138:139], v[78:79], s[38:39]
	v_fma_f64 v[66:67], v[66:67], s[6:7], v[98:99]
	v_fma_f64 v[16:17], v[74:75], s[8:9], -v[20:21]
	v_fma_f64 v[20:21], v[74:75], s[8:9], v[20:21]
	v_add_f64 v[10:11], v[12:13], v[10:11]
	v_mul_f64 v[12:13], v[78:79], s[24:25]
	v_mul_f64 v[78:79], v[82:83], s[14:15]
	;; [unrolled: 1-line block ×3, first 2 shown]
	v_add_f64 v[112:113], v[122:123], v[112:113]
	v_fma_f64 v[122:123], v[64:65], s[30:31], v[136:137]
	v_add_f64 v[116:117], v[126:127], v[116:117]
	v_add_f64 v[6:7], v[6:7], v[26:27]
	;; [unrolled: 1-line block ×3, first 2 shown]
	v_mul_f64 v[18:19], v[80:81], s[16:17]
	v_fma_f64 v[70:71], v[70:71], s[14:15], v[96:97]
	v_add_f64 v[2:3], v[2:3], v[66:67]
	v_fma_f64 v[66:67], v[76:77], s[18:19], -v[78:79]
	v_add_f64 v[16:17], v[0:1], v[16:17]
	v_fma_f64 v[24:25], v[76:77], s[18:19], v[78:79]
	v_add_f64 v[0:1], v[0:1], v[20:21]
	v_mul_f64 v[142:143], v[88:89], s[34:35]
	v_fma_f64 v[148:149], v[72:73], s[26:27], v[134:135]
	v_fma_f64 v[130:131], v[62:63], s[34:35], v[140:141]
	v_add_f64 v[116:117], v[122:123], v[116:117]
	v_fma_f64 v[134:135], v[72:73], s[26:27], -v[134:135]
	v_add_f64 v[6:7], v[6:7], v[30:31]
	v_add_f64 v[8:9], v[8:9], v[28:29]
	v_mul_f64 v[92:93], v[92:93], s[28:29]
	v_mul_f64 v[22:23], v[88:89], s[22:23]
	v_fma_f64 v[20:21], v[64:65], s[16:17], v[94:95]
	v_add_f64 v[2:3], v[70:71], v[2:3]
	v_fma_f64 v[26:27], v[72:73], s[20:21], -v[18:19]
	v_add_f64 v[16:17], v[66:67], v[16:17]
	v_fma_f64 v[18:19], v[72:73], s[20:21], v[18:19]
	v_add_f64 v[0:1], v[24:25], v[0:1]
	v_fma_f64 v[122:123], v[60:61], s[38:39], v[144:145]
	v_add_f64 v[116:117], v[130:131], v[116:117]
	v_fma_f64 v[130:131], v[68:69], s[20:21], -v[142:143]
	v_add_f64 v[120:121], v[134:135], v[120:121]
	v_add_f64 v[6:7], v[6:7], v[34:35]
	v_add_f64 v[8:9], v[8:9], v[32:33]
	v_mul_f64 v[90:91], v[90:91], s[26:27]
	v_fma_f64 v[24:25], v[62:63], s[22:23], v[92:93]
	v_add_f64 v[2:3], v[20:21], v[2:3]
	v_fma_f64 v[20:21], v[68:69], s[28:29], -v[22:23]
	v_add_f64 v[16:17], v[26:27], v[16:17]
	v_fma_f64 v[22:23], v[68:69], s[28:29], v[22:23]
	v_add_f64 v[0:1], v[18:19], v[0:1]
	v_fma_f64 v[146:147], v[68:69], s[20:21], v[142:143]
	v_add_f64 v[124:125], v[148:149], v[124:125]
	v_add_f64 v[4:5], v[122:123], v[116:117]
	;; [unrolled: 1-line block ×3, first 2 shown]
	v_fma_f64 v[120:121], v[62:63], s[0:1], v[92:93]
	v_add_f64 v[6:7], v[6:7], v[42:43]
	v_add_f64 v[26:27], v[8:9], v[40:41]
	v_fma_f64 v[18:19], v[60:61], s[24:25], v[90:91]
	v_add_f64 v[2:3], v[24:25], v[2:3]
	v_fma_f64 v[24:25], v[86:87], s[26:27], -v[12:13]
	v_add_f64 v[16:17], v[20:21], v[16:17]
	v_fma_f64 v[14:15], v[86:87], s[8:9], -v[138:139]
	v_fma_f64 v[30:31], v[86:87], s[26:27], v[12:13]
	v_add_f64 v[0:1], v[22:23], v[0:1]
	v_fma_f64 v[126:127], v[86:87], s[8:9], v[138:139]
	v_add_f64 v[124:125], v[146:147], v[124:125]
	;; [unrolled: 2-line block ×3, first 2 shown]
	v_add_f64 v[12:13], v[6:7], v[38:39]
	v_add_f64 v[10:11], v[26:27], v[36:37]
	;; [unrolled: 1-line block ×5, first 2 shown]
	s_movk_i32 s0, 0xb0
	v_add_f64 v[14:15], v[30:31], v[0:1]
	v_mad_i32_i24 v0, v102, s0, 0
	v_add_f64 v[116:117], v[126:127], v[124:125]
	v_add_f64 v[16:17], v[20:21], v[28:29]
	ds_write_b128 v0, v[10:13]
	ds_write_b128 v0, v[6:9] offset:16
	ds_write_b128 v0, v[2:5] offset:32
	;; [unrolled: 1-line block ×10, first 2 shown]
.LBB0_15:
	s_or_b64 exec, exec, s[36:37]
	s_movk_i32 s0, 0x75
	v_mul_lo_u16_sdwa v0, v100, s0 dst_sel:DWORD dst_unused:UNUSED_PAD src0_sel:BYTE_0 src1_sel:DWORD
	v_sub_u16_sdwa v1, v100, v0 dst_sel:DWORD dst_unused:UNUSED_PAD src0_sel:DWORD src1_sel:BYTE_1
	v_lshrrev_b16_e32 v1, 1, v1
	v_and_b32_e32 v1, 0x7f, v1
	v_add_u16_sdwa v0, v1, v0 dst_sel:DWORD dst_unused:UNUSED_PAD src0_sel:DWORD src1_sel:BYTE_1
	v_lshrrev_b16_e32 v0, 3, v0
	v_mul_lo_u16_e32 v1, 11, v0
	v_sub_u16_e32 v1, v100, v1
	v_mov_b32_e32 v2, 6
	v_lshlrev_b32_sdwa v3, v2, v1 dst_sel:DWORD dst_unused:UNUSED_PAD src0_sel:DWORD src1_sel:BYTE_0
	s_waitcnt lgkmcnt(0)
	; wave barrier
	s_waitcnt lgkmcnt(0)
	global_load_dwordx4 v[9:12], v3, s[12:13] offset:48
	global_load_dwordx4 v[13:16], v3, s[12:13] offset:32
	;; [unrolled: 1-line block ×3, first 2 shown]
	global_load_dwordx4 v[21:24], v3, s[12:13]
	v_mul_lo_u16_sdwa v3, v102, s0 dst_sel:DWORD dst_unused:UNUSED_PAD src0_sel:BYTE_0 src1_sel:DWORD
	v_sub_u16_sdwa v5, v102, v3 dst_sel:DWORD dst_unused:UNUSED_PAD src0_sel:DWORD src1_sel:BYTE_1
	v_lshrrev_b16_e32 v5, 1, v5
	v_and_b32_e32 v5, 0x7f, v5
	v_add_u16_sdwa v3, v5, v3 dst_sel:DWORD dst_unused:UNUSED_PAD src0_sel:DWORD src1_sel:BYTE_1
	v_lshrrev_b16_e32 v5, 3, v3
	v_mul_lo_u16_e32 v3, 11, v5
	v_sub_u16_e32 v6, v102, v3
	v_add_u32_e32 v4, 0x6e, v100
	v_lshlrev_b32_sdwa v3, v2, v6 dst_sel:DWORD dst_unused:UNUSED_PAD src0_sel:DWORD src1_sel:BYTE_0
	global_load_dwordx4 v[25:28], v3, s[12:13] offset:48
	global_load_dwordx4 v[29:32], v3, s[12:13] offset:32
	;; [unrolled: 1-line block ×3, first 2 shown]
	global_load_dwordx4 v[37:40], v3, s[12:13]
	v_mul_lo_u16_sdwa v3, v4, s0 dst_sel:DWORD dst_unused:UNUSED_PAD src0_sel:BYTE_0 src1_sel:DWORD
	v_sub_u16_sdwa v7, v4, v3 dst_sel:DWORD dst_unused:UNUSED_PAD src0_sel:DWORD src1_sel:BYTE_1
	v_lshrrev_b16_e32 v7, 1, v7
	v_and_b32_e32 v7, 0x7f, v7
	v_add_u16_sdwa v3, v7, v3 dst_sel:DWORD dst_unused:UNUSED_PAD src0_sel:DWORD src1_sel:BYTE_1
	v_lshrrev_b16_e32 v7, 3, v3
	v_mul_lo_u16_e32 v3, 11, v7
	v_sub_u16_e32 v8, v4, v3
	v_lshlrev_b32_sdwa v2, v2, v8 dst_sel:DWORD dst_unused:UNUSED_PAD src0_sel:DWORD src1_sel:BYTE_0
	global_load_dwordx4 v[41:44], v2, s[12:13]
	global_load_dwordx4 v[45:48], v2, s[12:13] offset:16
	global_load_dwordx4 v[49:52], v2, s[12:13] offset:32
	;; [unrolled: 1-line block ×3, first 2 shown]
	s_movk_i32 s0, 0xff60
	v_mad_i32_i24 v3, v100, s0, v103
	ds_read_b128 v[64:67], v101
	ds_read_b128 v[68:71], v101 offset:3520
	ds_read_b128 v[72:75], v101 offset:7920
	;; [unrolled: 1-line block ×12, first 2 shown]
	s_mov_b32 s8, 0x134454ff
	s_mov_b32 s9, 0x3fee6f0e
	s_mov_b32 s6, 0x4755a5e
	s_mov_b32 s7, 0x3fe2cf23
	s_mov_b32 s15, 0xbfee6f0e
	s_mov_b32 s14, s8
	s_mov_b32 s17, 0xbfe2cf23
	s_mov_b32 s16, s6
	v_lshl_add_u32 v2, v102, 4, 0
	ds_read_b128 v[120:123], v2
	ds_read_b128 v[124:127], v3 offset:1760
	s_mov_b32 s18, 0x372fe950
	s_mov_b32 s19, 0x3fd3c6ef
	v_mul_u32_u24_e32 v0, 0x370, v0
	s_waitcnt lgkmcnt(0)
	; wave barrier
	s_waitcnt vmcnt(11) lgkmcnt(0)
	v_mul_f64 v[132:133], v[98:99], v[11:12]
	s_waitcnt vmcnt(10)
	v_mul_f64 v[130:131], v[74:75], v[15:16]
	s_waitcnt vmcnt(9)
	;; [unrolled: 2-line block ×3, first 2 shown]
	v_mul_f64 v[53:54], v[118:119], v[23:24]
	v_mul_f64 v[23:24], v[116:117], v[23:24]
	;; [unrolled: 1-line block ×5, first 2 shown]
	v_fma_f64 v[53:54], v[116:117], v[21:22], -v[53:54]
	v_fma_f64 v[23:24], v[118:119], v[21:22], v[23:24]
	v_fma_f64 v[21:22], v[80:81], v[17:18], -v[128:129]
	v_fma_f64 v[19:20], v[82:83], v[17:18], v[19:20]
	v_fma_f64 v[17:18], v[72:73], v[13:14], -v[130:131]
	s_waitcnt vmcnt(6)
	v_mul_f64 v[138:139], v[78:79], v[31:32]
	v_mul_f64 v[31:32], v[76:77], v[31:32]
	;; [unrolled: 1-line block ×4, first 2 shown]
	v_fma_f64 v[72:73], v[98:99], v[9:10], v[11:12]
	s_waitcnt vmcnt(4)
	v_mul_f64 v[134:135], v[70:71], v[39:40]
	v_mul_f64 v[39:40], v[68:69], v[39:40]
	v_add_f64 v[11:12], v[21:22], v[17:18]
	v_mul_f64 v[136:137], v[90:91], v[35:36]
	v_mul_f64 v[35:36], v[88:89], v[35:36]
	s_waitcnt vmcnt(3)
	v_mul_f64 v[142:143], v[86:87], v[43:44]
	v_mul_f64 v[43:44], v[84:85], v[43:44]
	v_fma_f64 v[15:16], v[74:75], v[13:14], v[15:16]
	v_fma_f64 v[13:14], v[96:97], v[9:10], -v[132:133]
	v_fma_f64 v[74:75], v[76:77], v[29:30], -v[138:139]
	v_fma_f64 v[76:77], v[78:79], v[29:30], v[31:32]
	v_fma_f64 v[31:32], v[108:109], v[25:26], -v[140:141]
	v_fma_f64 v[78:79], v[110:111], v[25:26], v[27:28]
	v_add_f64 v[25:26], v[23:24], -v[72:73]
	v_fma_f64 v[11:12], v[11:12], -0.5, v[64:65]
	v_fma_f64 v[68:69], v[68:69], v[37:38], -v[134:135]
	v_fma_f64 v[39:40], v[70:71], v[37:38], v[39:40]
	v_fma_f64 v[70:71], v[88:89], v[33:34], -v[136:137]
	v_fma_f64 v[35:36], v[90:91], v[33:34], v[35:36]
	;; [unrolled: 2-line block ×3, first 2 shown]
	v_add_f64 v[27:28], v[19:20], -v[15:16]
	v_add_f64 v[29:30], v[53:54], v[13:14]
	v_add_f64 v[33:34], v[53:54], -v[21:22]
	v_add_f64 v[37:38], v[13:14], -v[17:18]
	v_fma_f64 v[41:42], v[25:26], s[8:9], v[11:12]
	s_waitcnt vmcnt(2)
	v_mul_f64 v[144:145], v[94:95], v[47:48]
	v_mul_f64 v[47:48], v[92:93], v[47:48]
	s_waitcnt vmcnt(1)
	v_mul_f64 v[146:147], v[106:107], v[51:52]
	v_mul_f64 v[51:52], v[104:105], v[51:52]
	v_add_f64 v[9:10], v[64:65], v[53:54]
	v_fma_f64 v[29:30], v[29:30], -0.5, v[64:65]
	v_add_f64 v[43:44], v[66:67], v[23:24]
	v_add_f64 v[33:34], v[33:34], v[37:38]
	v_fma_f64 v[37:38], v[27:28], s[6:7], v[41:42]
	v_add_f64 v[41:42], v[19:20], v[15:16]
	v_fma_f64 v[84:85], v[92:93], v[45:46], -v[144:145]
	v_fma_f64 v[86:87], v[94:95], v[45:46], v[47:48]
	v_add_f64 v[9:10], v[9:10], v[21:22]
	v_fma_f64 v[88:89], v[104:105], v[49:50], -v[146:147]
	v_fma_f64 v[51:52], v[106:107], v[49:50], v[51:52]
	v_fma_f64 v[11:12], v[25:26], s[14:15], v[11:12]
	;; [unrolled: 1-line block ×3, first 2 shown]
	v_add_f64 v[47:48], v[21:22], -v[53:54]
	v_add_f64 v[49:50], v[17:18], -v[13:14]
	v_fma_f64 v[29:30], v[27:28], s[8:9], v[29:30]
	v_add_f64 v[43:44], v[43:44], v[19:20]
	v_fma_f64 v[41:42], v[41:42], -0.5, v[66:67]
	v_add_f64 v[53:54], v[53:54], -v[13:14]
	v_add_f64 v[9:10], v[9:10], v[17:18]
	v_fma_f64 v[11:12], v[27:28], s[16:17], v[11:12]
	v_fma_f64 v[27:28], v[25:26], s[6:7], v[45:46]
	v_add_f64 v[45:46], v[47:48], v[49:50]
	v_fma_f64 v[25:26], v[25:26], s[16:17], v[29:30]
	v_add_f64 v[29:30], v[43:44], v[15:16]
	v_add_f64 v[47:48], v[23:24], v[72:73]
	v_fma_f64 v[43:44], v[53:54], s[14:15], v[41:42]
	v_add_f64 v[49:50], v[21:22], -v[17:18]
	v_add_f64 v[9:10], v[9:10], v[13:14]
	v_fma_f64 v[13:14], v[33:34], s[18:19], v[37:38]
	v_fma_f64 v[17:18], v[33:34], s[18:19], v[11:12]
	;; [unrolled: 1-line block ×3, first 2 shown]
	v_add_f64 v[11:12], v[29:30], v[72:73]
	v_fma_f64 v[27:28], v[47:48], -0.5, v[66:67]
	v_add_f64 v[33:34], v[23:24], -v[19:20]
	v_fma_f64 v[29:30], v[49:50], s[16:17], v[43:44]
	v_add_f64 v[37:38], v[72:73], -v[15:16]
	v_add_f64 v[43:44], v[120:121], v[68:69]
	v_fma_f64 v[25:26], v[45:46], s[18:19], v[25:26]
	v_fma_f64 v[41:42], v[53:54], s[8:9], v[41:42]
	v_add_f64 v[45:46], v[70:71], v[74:75]
	v_fma_f64 v[47:48], v[49:50], s[8:9], v[27:28]
	v_add_f64 v[19:20], v[19:20], -v[23:24]
	v_add_f64 v[15:16], v[15:16], -v[72:73]
	v_fma_f64 v[23:24], v[49:50], s[14:15], v[27:28]
	v_add_f64 v[27:28], v[33:34], v[37:38]
	v_add_f64 v[33:34], v[43:44], v[70:71]
	s_waitcnt vmcnt(0)
	v_mul_f64 v[148:149], v[114:115], v[62:63]
	v_mul_f64 v[62:63], v[112:113], v[62:63]
	v_fma_f64 v[37:38], v[49:50], s[6:7], v[41:42]
	v_fma_f64 v[41:42], v[45:46], -0.5, v[120:121]
	v_add_f64 v[43:44], v[39:40], -v[78:79]
	v_fma_f64 v[45:46], v[53:54], s[16:17], v[47:48]
	v_add_f64 v[47:48], v[19:20], v[15:16]
	v_fma_f64 v[49:50], v[53:54], s[6:7], v[23:24]
	v_add_f64 v[53:54], v[68:69], v[31:32]
	v_add_f64 v[33:34], v[33:34], v[74:75]
	v_fma_f64 v[90:91], v[112:113], v[60:61], -v[148:149]
	v_fma_f64 v[62:63], v[114:115], v[60:61], v[62:63]
	v_fma_f64 v[15:16], v[27:28], s[18:19], v[29:30]
	;; [unrolled: 1-line block ×4, first 2 shown]
	v_add_f64 v[60:61], v[35:36], -v[76:77]
	v_fma_f64 v[23:24], v[47:48], s[18:19], v[45:46]
	v_fma_f64 v[27:28], v[47:48], s[18:19], v[49:50]
	v_fma_f64 v[45:46], v[53:54], -0.5, v[120:121]
	v_add_f64 v[29:30], v[33:34], v[31:32]
	v_add_f64 v[33:34], v[68:69], -v[70:71]
	v_add_f64 v[47:48], v[31:32], -v[74:75]
	v_fma_f64 v[41:42], v[43:44], s[14:15], v[41:42]
	v_add_f64 v[49:50], v[122:123], v[39:40]
	v_add_f64 v[53:54], v[35:36], v[76:77]
	v_fma_f64 v[37:38], v[60:61], s[6:7], v[37:38]
	v_fma_f64 v[64:65], v[60:61], s[14:15], v[45:46]
	v_add_f64 v[66:67], v[70:71], -v[68:69]
	v_add_f64 v[72:73], v[74:75], -v[31:32]
	v_add_f64 v[47:48], v[33:34], v[47:48]
	v_fma_f64 v[41:42], v[60:61], s[16:17], v[41:42]
	v_fma_f64 v[45:46], v[60:61], s[8:9], v[45:46]
	v_add_f64 v[49:50], v[49:50], v[35:36]
	v_fma_f64 v[53:54], v[53:54], -0.5, v[122:123]
	v_add_f64 v[60:61], v[68:69], -v[31:32]
	v_fma_f64 v[31:32], v[43:44], s[6:7], v[64:65]
	v_add_f64 v[64:65], v[66:67], v[72:73]
	v_fma_f64 v[33:34], v[47:48], s[18:19], v[37:38]
	v_fma_f64 v[37:38], v[47:48], s[18:19], v[41:42]
	;; [unrolled: 1-line block ×3, first 2 shown]
	v_add_f64 v[47:48], v[49:50], v[76:77]
	v_add_f64 v[49:50], v[39:40], v[78:79]
	v_fma_f64 v[66:67], v[60:61], s[14:15], v[53:54]
	v_add_f64 v[68:69], v[70:71], -v[74:75]
	v_add_f64 v[70:71], v[84:85], v[88:89]
	v_fma_f64 v[41:42], v[64:65], s[18:19], v[31:32]
	v_add_f64 v[72:73], v[39:40], -v[35:36]
	v_add_f64 v[74:75], v[78:79], -v[76:77]
	v_fma_f64 v[45:46], v[64:65], s[18:19], v[43:44]
	v_fma_f64 v[43:44], v[49:50], -0.5, v[122:123]
	v_add_f64 v[31:32], v[47:48], v[78:79]
	v_fma_f64 v[47:48], v[68:69], s[16:17], v[66:67]
	v_fma_f64 v[64:65], v[70:71], -0.5, v[124:125]
	v_add_f64 v[66:67], v[82:83], -v[62:63]
	v_fma_f64 v[53:54], v[60:61], s[8:9], v[53:54]
	v_add_f64 v[70:71], v[72:73], v[74:75]
	v_add_f64 v[35:36], v[35:36], -v[39:40]
	v_fma_f64 v[72:73], v[68:69], s[8:9], v[43:44]
	v_add_f64 v[39:40], v[76:77], -v[78:79]
	v_fma_f64 v[43:44], v[68:69], s[14:15], v[43:44]
	v_add_f64 v[76:77], v[86:87], -v[51:52]
	v_fma_f64 v[74:75], v[66:67], s[8:9], v[64:65]
	v_add_f64 v[78:79], v[80:81], -v[84:85]
	v_add_f64 v[92:93], v[90:91], -v[88:89]
	v_add_f64 v[49:50], v[124:125], v[80:81]
	v_fma_f64 v[53:54], v[68:69], s[6:7], v[53:54]
	v_fma_f64 v[72:73], v[60:61], s[16:17], v[72:73]
	v_add_f64 v[94:95], v[35:36], v[39:40]
	v_fma_f64 v[60:61], v[60:61], s[6:7], v[43:44]
	v_fma_f64 v[74:75], v[76:77], s[6:7], v[74:75]
	v_add_f64 v[68:69], v[80:81], v[90:91]
	v_add_f64 v[78:79], v[78:79], v[92:93]
	;; [unrolled: 1-line block ×3, first 2 shown]
	v_fma_f64 v[39:40], v[70:71], s[18:19], v[53:54]
	v_add_f64 v[53:54], v[86:87], v[51:52]
	v_fma_f64 v[35:36], v[70:71], s[18:19], v[47:48]
	v_fma_f64 v[47:48], v[94:95], s[18:19], v[60:61]
	;; [unrolled: 1-line block ×3, first 2 shown]
	v_fma_f64 v[68:69], v[68:69], -0.5, v[124:125]
	v_fma_f64 v[60:61], v[78:79], s[18:19], v[74:75]
	v_add_f64 v[74:75], v[82:83], v[62:63]
	v_fma_f64 v[64:65], v[66:67], s[14:15], v[64:65]
	v_add_f64 v[94:95], v[126:127], v[82:83]
	v_add_f64 v[49:50], v[49:50], v[88:89]
	v_add_f64 v[72:73], v[84:85], -v[80:81]
	v_add_f64 v[92:93], v[88:89], -v[90:91]
	v_fma_f64 v[53:54], v[53:54], -0.5, v[126:127]
	v_add_f64 v[80:81], v[80:81], -v[90:91]
	v_add_f64 v[84:85], v[84:85], -v[88:89]
	v_fma_f64 v[74:75], v[74:75], -0.5, v[126:127]
	v_fma_f64 v[70:71], v[76:77], s[14:15], v[68:69]
	v_fma_f64 v[64:65], v[76:77], s[16:17], v[64:65]
	v_fma_f64 v[68:69], v[76:77], s[8:9], v[68:69]
	v_add_f64 v[76:77], v[94:95], v[86:87]
	v_add_f64 v[49:50], v[49:50], v[90:91]
	;; [unrolled: 1-line block ×3, first 2 shown]
	v_fma_f64 v[88:89], v[80:81], s[14:15], v[53:54]
	v_add_f64 v[90:91], v[82:83], -v[86:87]
	v_add_f64 v[92:93], v[62:63], -v[51:52]
	v_fma_f64 v[53:54], v[80:81], s[8:9], v[53:54]
	v_fma_f64 v[94:95], v[84:85], s[8:9], v[74:75]
	v_add_f64 v[82:83], v[86:87], -v[82:83]
	v_add_f64 v[86:87], v[51:52], -v[62:63]
	v_fma_f64 v[74:75], v[84:85], s[14:15], v[74:75]
	v_add_f64 v[51:52], v[76:77], v[51:52]
	v_fma_f64 v[70:71], v[66:67], s[6:7], v[70:71]
	v_fma_f64 v[66:67], v[66:67], s[16:17], v[68:69]
	;; [unrolled: 1-line block ×3, first 2 shown]
	v_add_f64 v[88:89], v[90:91], v[92:93]
	v_fma_f64 v[53:54], v[84:85], s[6:7], v[53:54]
	v_fma_f64 v[84:85], v[80:81], s[16:17], v[94:95]
	v_add_f64 v[82:83], v[82:83], v[86:87]
	v_fma_f64 v[74:75], v[80:81], s[6:7], v[74:75]
	v_add_f64 v[51:52], v[51:52], v[62:63]
	v_fma_f64 v[68:69], v[72:73], s[18:19], v[70:71]
	v_fma_f64 v[72:73], v[72:73], s[18:19], v[66:67]
	;; [unrolled: 1-line block ×4, first 2 shown]
	v_mov_b32_e32 v53, 4
	v_fma_f64 v[70:71], v[82:83], s[18:19], v[84:85]
	v_lshlrev_b32_sdwa v1, v53, v1 dst_sel:DWORD dst_unused:UNUSED_PAD src0_sel:DWORD src1_sel:BYTE_0
	v_fma_f64 v[74:75], v[82:83], s[18:19], v[74:75]
	v_add3_u32 v0, 0, v0, v1
	v_fma_f64 v[64:65], v[78:79], s[18:19], v[64:65]
	ds_write_b128 v0, v[9:12]
	ds_write_b128 v0, v[13:16] offset:176
	ds_write_b128 v0, v[21:24] offset:352
	;; [unrolled: 1-line block ×4, first 2 shown]
	v_mul_u32_u24_e32 v0, 0x370, v5
	v_lshlrev_b32_sdwa v1, v53, v6 dst_sel:DWORD dst_unused:UNUSED_PAD src0_sel:DWORD src1_sel:BYTE_0
	v_add3_u32 v0, 0, v0, v1
	ds_write_b128 v0, v[29:32]
	ds_write_b128 v0, v[33:36] offset:176
	ds_write_b128 v0, v[41:44] offset:352
	;; [unrolled: 1-line block ×4, first 2 shown]
	v_mul_u32_u24_e32 v0, 0x370, v7
	v_lshlrev_b32_sdwa v1, v53, v8 dst_sel:DWORD dst_unused:UNUSED_PAD src0_sel:DWORD src1_sel:BYTE_0
	v_add3_u32 v0, 0, v0, v1
	ds_write_b128 v0, v[49:52]
	ds_write_b128 v0, v[60:63] offset:176
	ds_write_b128 v0, v[68:71] offset:352
	;; [unrolled: 1-line block ×4, first 2 shown]
	v_lshlrev_b32_e32 v0, 2, v100
	v_mov_b32_e32 v1, 0
	v_lshlrev_b64 v[6:7], 4, v[0:1]
	v_mov_b32_e32 v5, s13
	v_add_co_u32_e64 v22, s[0:1], s12, v6
	v_addc_co_u32_e64 v23, s[0:1], v5, v7, s[0:1]
	s_waitcnt lgkmcnt(0)
	; wave barrier
	s_waitcnt lgkmcnt(0)
	global_load_dwordx4 v[6:9], v[22:23], off offset:704
	global_load_dwordx4 v[10:13], v[22:23], off offset:720
	;; [unrolled: 1-line block ×4, first 2 shown]
	s_movk_i32 s0, 0x95
	v_mul_lo_u16_sdwa v0, v4, s0 dst_sel:DWORD dst_unused:UNUSED_PAD src0_sel:BYTE_0 src1_sel:DWORD
	v_lshrrev_b16_e32 v0, 13, v0
	v_mul_lo_u16_e32 v0, 55, v0
	v_sub_u16_e32 v0, v4, v0
	v_and_b32_e32 v0, 0xff, v0
	v_lshlrev_b32_e32 v38, 6, v0
	global_load_dwordx4 v[22:25], v38, s[12:13] offset:704
	global_load_dwordx4 v[26:29], v38, s[12:13] offset:720
	;; [unrolled: 1-line block ×4, first 2 shown]
	ds_read_b128 v[38:41], v2
	ds_read_b128 v[42:45], v101
	ds_read_b128 v[46:49], v101 offset:3520
	ds_read_b128 v[50:53], v101 offset:7920
	;; [unrolled: 1-line block ×13, first 2 shown]
	v_lshl_add_u32 v0, v0, 4, 0
	s_waitcnt lgkmcnt(0)
	; wave barrier
	s_waitcnt vmcnt(7) lgkmcnt(0)
	v_mul_f64 v[54:55], v[66:67], v[8:9]
	v_mul_f64 v[107:108], v[64:65], v[8:9]
	s_waitcnt vmcnt(6)
	v_mul_f64 v[109:110], v[74:75], v[12:13]
	v_mul_f64 v[111:112], v[72:73], v[12:13]
	;; [unrolled: 1-line block ×6, first 2 shown]
	v_fma_f64 v[54:55], v[64:65], v[6:7], -v[54:55]
	v_fma_f64 v[64:65], v[66:67], v[6:7], v[107:108]
	v_fma_f64 v[66:67], v[72:73], v[10:11], -v[109:110]
	s_waitcnt vmcnt(5)
	v_mul_f64 v[72:73], v[52:53], v[16:17]
	v_fma_f64 v[74:75], v[74:75], v[10:11], v[111:112]
	v_mul_f64 v[107:108], v[50:51], v[16:17]
	s_waitcnt vmcnt(4)
	v_mul_f64 v[109:110], v[90:91], v[20:21]
	v_mul_f64 v[111:112], v[88:89], v[20:21]
	v_fma_f64 v[46:47], v[46:47], v[6:7], -v[113:114]
	v_fma_f64 v[48:49], v[48:49], v[6:7], v[8:9]
	v_mul_f64 v[6:7], v[62:63], v[16:17]
	v_fma_f64 v[50:51], v[50:51], v[14:15], -v[72:73]
	v_fma_f64 v[80:81], v[80:81], v[10:11], -v[115:116]
	v_fma_f64 v[82:83], v[82:83], v[10:11], v[12:13]
	v_fma_f64 v[72:73], v[88:89], v[18:19], -v[109:110]
	v_fma_f64 v[88:89], v[90:91], v[18:19], v[111:112]
	v_mul_f64 v[8:9], v[60:61], v[16:17]
	v_mul_f64 v[10:11], v[98:99], v[20:21]
	;; [unrolled: 1-line block ×3, first 2 shown]
	s_waitcnt vmcnt(3)
	v_mul_f64 v[16:17], v[78:79], v[24:25]
	v_mul_f64 v[20:21], v[76:77], v[24:25]
	v_fma_f64 v[60:61], v[60:61], v[14:15], -v[6:7]
	v_add_f64 v[6:7], v[66:67], v[50:51]
	v_fma_f64 v[52:53], v[52:53], v[14:15], v[107:108]
	s_waitcnt vmcnt(2)
	v_mul_f64 v[24:25], v[86:87], v[28:29]
	v_fma_f64 v[90:91], v[96:97], v[18:19], -v[10:11]
	v_fma_f64 v[96:97], v[98:99], v[18:19], v[12:13]
	v_fma_f64 v[76:77], v[76:77], v[22:23], -v[16:17]
	v_fma_f64 v[78:79], v[78:79], v[22:23], v[20:21]
	v_add_f64 v[10:11], v[64:65], -v[88:89]
	v_fma_f64 v[6:7], v[6:7], -0.5, v[42:43]
	v_mul_f64 v[12:13], v[84:85], v[28:29]
	v_add_f64 v[22:23], v[54:55], v[72:73]
	v_fma_f64 v[62:63], v[62:63], v[14:15], v[8:9]
	v_fma_f64 v[98:99], v[84:85], v[26:27], -v[24:25]
	s_waitcnt vmcnt(1)
	v_mul_f64 v[14:15], v[94:95], v[32:33]
	v_mul_f64 v[16:17], v[92:93], v[32:33]
	s_waitcnt vmcnt(0)
	v_mul_f64 v[18:19], v[105:106], v[36:37]
	v_mul_f64 v[20:21], v[103:104], v[36:37]
	v_fma_f64 v[24:25], v[10:11], s[8:9], v[6:7]
	v_add_f64 v[28:29], v[74:75], -v[52:53]
	v_fma_f64 v[84:85], v[86:87], v[26:27], v[12:13]
	v_fma_f64 v[12:13], v[22:23], -0.5, v[42:43]
	v_add_f64 v[8:9], v[42:43], v[54:55]
	v_fma_f64 v[86:87], v[92:93], v[30:31], -v[14:15]
	v_fma_f64 v[92:93], v[94:95], v[30:31], v[16:17]
	v_fma_f64 v[94:95], v[103:104], v[34:35], -v[18:19]
	v_fma_f64 v[103:104], v[105:106], v[34:35], v[20:21]
	v_fma_f64 v[14:15], v[28:29], s[6:7], v[24:25]
	v_add_f64 v[16:17], v[54:55], -v[66:67]
	v_add_f64 v[18:19], v[44:45], v[64:65]
	v_add_f64 v[20:21], v[74:75], v[52:53]
	v_add_f64 v[22:23], v[72:73], -v[50:51]
	v_fma_f64 v[6:7], v[10:11], s[14:15], v[6:7]
	v_fma_f64 v[24:25], v[28:29], s[14:15], v[12:13]
	v_add_f64 v[26:27], v[66:67], -v[54:55]
	v_add_f64 v[30:31], v[50:51], -v[72:73]
	v_fma_f64 v[12:13], v[28:29], s[8:9], v[12:13]
	v_add_f64 v[8:9], v[8:9], v[66:67]
	v_add_f64 v[18:19], v[18:19], v[74:75]
	v_fma_f64 v[20:21], v[20:21], -0.5, v[44:45]
	v_add_f64 v[32:33], v[54:55], -v[72:73]
	v_add_f64 v[16:17], v[16:17], v[22:23]
	v_fma_f64 v[22:23], v[28:29], s[16:17], v[6:7]
	v_add_f64 v[26:27], v[26:27], v[30:31]
	v_fma_f64 v[12:13], v[10:11], s[16:17], v[12:13]
	v_add_f64 v[30:31], v[64:65], v[88:89]
	v_add_f64 v[8:9], v[8:9], v[50:51]
	v_fma_f64 v[24:25], v[10:11], s[6:7], v[24:25]
	v_add_f64 v[28:29], v[18:19], v[52:53]
	v_fma_f64 v[34:35], v[32:33], s[14:15], v[20:21]
	v_add_f64 v[36:37], v[66:67], -v[50:51]
	v_fma_f64 v[10:11], v[16:17], s[18:19], v[14:15]
	v_fma_f64 v[14:15], v[16:17], s[18:19], v[22:23]
	;; [unrolled: 1-line block ×3, first 2 shown]
	v_fma_f64 v[12:13], v[30:31], -0.5, v[44:45]
	v_add_f64 v[6:7], v[8:9], v[72:73]
	v_fma_f64 v[18:19], v[26:27], s[18:19], v[24:25]
	v_add_f64 v[8:9], v[28:29], v[88:89]
	v_fma_f64 v[16:17], v[36:37], s[16:17], v[34:35]
	v_add_f64 v[24:25], v[64:65], -v[74:75]
	v_add_f64 v[26:27], v[88:89], -v[52:53]
	v_add_f64 v[28:29], v[38:39], v[46:47]
	v_fma_f64 v[20:21], v[32:33], s[8:9], v[20:21]
	v_add_f64 v[30:31], v[80:81], v[60:61]
	v_fma_f64 v[34:35], v[36:37], s[8:9], v[12:13]
	v_add_f64 v[42:43], v[74:75], -v[64:65]
	v_add_f64 v[44:45], v[52:53], -v[88:89]
	v_fma_f64 v[12:13], v[36:37], s[14:15], v[12:13]
	v_add_f64 v[24:25], v[24:25], v[26:27]
	v_add_f64 v[26:27], v[28:29], v[80:81]
	v_fma_f64 v[20:21], v[36:37], s[6:7], v[20:21]
	v_fma_f64 v[28:29], v[30:31], -0.5, v[38:39]
	v_fma_f64 v[30:31], v[32:33], s[16:17], v[34:35]
	v_add_f64 v[36:37], v[48:49], -v[96:97]
	v_add_f64 v[34:35], v[42:43], v[44:45]
	v_add_f64 v[42:43], v[46:47], v[90:91]
	v_fma_f64 v[32:33], v[32:33], s[6:7], v[12:13]
	v_fma_f64 v[12:13], v[24:25], s[18:19], v[16:17]
	;; [unrolled: 1-line block ×3, first 2 shown]
	v_add_f64 v[50:51], v[82:83], -v[62:63]
	v_add_f64 v[54:55], v[80:81], -v[46:47]
	v_fma_f64 v[44:45], v[36:37], s[8:9], v[28:29]
	v_fma_f64 v[20:21], v[34:35], s[18:19], v[30:31]
	v_fma_f64 v[30:31], v[42:43], -0.5, v[38:39]
	v_fma_f64 v[24:25], v[34:35], s[18:19], v[32:33]
	v_add_f64 v[32:33], v[46:47], -v[80:81]
	v_add_f64 v[34:35], v[90:91], -v[60:61]
	v_fma_f64 v[28:29], v[36:37], s[14:15], v[28:29]
	v_add_f64 v[64:65], v[60:61], -v[90:91]
	v_fma_f64 v[38:39], v[50:51], s[6:7], v[44:45]
	v_add_f64 v[42:43], v[40:41], v[48:49]
	v_fma_f64 v[52:53], v[50:51], s[14:15], v[30:31]
	v_add_f64 v[44:45], v[82:83], v[62:63]
	v_add_f64 v[46:47], v[46:47], -v[90:91]
	v_add_f64 v[32:33], v[32:33], v[34:35]
	v_fma_f64 v[28:29], v[50:51], s[16:17], v[28:29]
	v_fma_f64 v[50:51], v[50:51], s[8:9], v[30:31]
	v_add_f64 v[54:55], v[54:55], v[64:65]
	v_add_f64 v[42:43], v[42:43], v[82:83]
	v_fma_f64 v[52:53], v[36:37], s[6:7], v[52:53]
	v_fma_f64 v[44:45], v[44:45], -0.5, v[40:41]
	v_add_f64 v[26:27], v[26:27], v[60:61]
	v_fma_f64 v[30:31], v[32:33], s[18:19], v[38:39]
	v_fma_f64 v[34:35], v[32:33], s[18:19], v[28:29]
	;; [unrolled: 1-line block ×3, first 2 shown]
	v_add_f64 v[36:37], v[48:49], v[96:97]
	v_add_f64 v[32:33], v[42:43], v[62:63]
	v_fma_f64 v[38:39], v[54:55], s[18:19], v[52:53]
	v_add_f64 v[52:53], v[98:99], v[86:87]
	v_fma_f64 v[50:51], v[46:47], s[14:15], v[44:45]
	v_add_f64 v[60:61], v[80:81], -v[60:61]
	v_add_f64 v[64:65], v[48:49], -v[82:83]
	;; [unrolled: 1-line block ×3, first 2 shown]
	v_fma_f64 v[36:37], v[36:37], -0.5, v[40:41]
	v_fma_f64 v[42:43], v[54:55], s[18:19], v[28:29]
	v_add_f64 v[54:55], v[78:79], -v[103:104]
	v_fma_f64 v[52:53], v[52:53], -0.5, v[68:69]
	v_add_f64 v[28:29], v[32:33], v[96:97]
	v_fma_f64 v[32:33], v[60:61], s[16:17], v[50:51]
	v_add_f64 v[40:41], v[68:69], v[76:77]
	v_add_f64 v[50:51], v[64:65], v[66:67]
	v_fma_f64 v[44:45], v[46:47], s[8:9], v[44:45]
	v_fma_f64 v[64:65], v[60:61], s[8:9], v[36:37]
	v_add_f64 v[48:49], v[82:83], -v[48:49]
	v_add_f64 v[62:63], v[62:63], -v[96:97]
	v_fma_f64 v[36:37], v[60:61], s[14:15], v[36:37]
	v_fma_f64 v[66:67], v[54:55], s[8:9], v[52:53]
	v_add_f64 v[72:73], v[84:85], -v[92:93]
	v_add_f64 v[74:75], v[76:77], -v[98:99]
	;; [unrolled: 1-line block ×3, first 2 shown]
	v_add_f64 v[40:41], v[40:41], v[98:99]
	v_fma_f64 v[44:45], v[60:61], s[6:7], v[44:45]
	v_fma_f64 v[64:65], v[46:47], s[16:17], v[64:65]
	v_add_f64 v[48:49], v[48:49], v[62:63]
	v_fma_f64 v[46:47], v[46:47], s[6:7], v[36:37]
	v_fma_f64 v[66:67], v[72:73], s[6:7], v[66:67]
	v_add_f64 v[60:61], v[76:77], v[94:95]
	v_add_f64 v[74:75], v[74:75], v[80:81]
	v_add_f64 v[62:63], v[40:41], v[86:87]
	v_fma_f64 v[36:37], v[50:51], s[18:19], v[44:45]
	v_fma_f64 v[32:33], v[50:51], s[18:19], v[32:33]
	;; [unrolled: 1-line block ×4, first 2 shown]
	v_add_f64 v[48:49], v[84:85], v[92:93]
	v_fma_f64 v[60:61], v[60:61], -0.5, v[68:69]
	v_fma_f64 v[50:51], v[74:75], s[18:19], v[66:67]
	v_add_f64 v[66:67], v[78:79], v[103:104]
	v_add_f64 v[64:65], v[98:99], -v[76:77]
	v_add_f64 v[68:69], v[86:87], -v[94:95]
	v_add_f64 v[80:81], v[70:71], v[78:79]
	v_fma_f64 v[52:53], v[54:55], s[14:15], v[52:53]
	v_fma_f64 v[48:49], v[48:49], -0.5, v[70:71]
	v_add_f64 v[76:77], v[76:77], -v[94:95]
	v_add_f64 v[82:83], v[98:99], -v[86:87]
	v_fma_f64 v[66:67], v[66:67], -0.5, v[70:71]
	v_add_f64 v[46:47], v[62:63], v[94:95]
	v_add_f64 v[68:69], v[64:65], v[68:69]
	;; [unrolled: 1-line block ×3, first 2 shown]
	v_fma_f64 v[62:63], v[72:73], s[14:15], v[60:61]
	v_fma_f64 v[52:53], v[72:73], s[16:17], v[52:53]
	;; [unrolled: 1-line block ×4, first 2 shown]
	v_add_f64 v[72:73], v[78:79], -v[84:85]
	v_add_f64 v[80:81], v[103:104], -v[92:93]
	v_fma_f64 v[48:49], v[76:77], s[8:9], v[48:49]
	v_fma_f64 v[86:87], v[82:83], s[8:9], v[66:67]
	v_add_f64 v[78:79], v[84:85], -v[78:79]
	v_add_f64 v[84:85], v[92:93], -v[103:104]
	v_fma_f64 v[66:67], v[82:83], s[14:15], v[66:67]
	v_add_f64 v[88:89], v[64:65], v[92:93]
	v_fma_f64 v[70:71], v[82:83], s[16:17], v[70:71]
	v_add_f64 v[72:73], v[72:73], v[80:81]
	v_fma_f64 v[62:63], v[54:55], s[6:7], v[62:63]
	v_fma_f64 v[80:81], v[82:83], s[6:7], v[48:49]
	;; [unrolled: 1-line block ×3, first 2 shown]
	v_add_f64 v[78:79], v[78:79], v[84:85]
	v_fma_f64 v[54:55], v[54:55], s[16:17], v[60:61]
	v_fma_f64 v[76:77], v[76:77], s[6:7], v[66:67]
	v_add_f64 v[48:49], v[88:89], v[103:104]
	v_fma_f64 v[60:61], v[74:75], s[18:19], v[52:53]
	v_fma_f64 v[52:53], v[72:73], s[18:19], v[70:71]
	;; [unrolled: 1-line block ×7, first 2 shown]
	v_add_f64 v[26:27], v[26:27], v[90:91]
	ds_write_b128 v101, v[6:9]
	ds_write_b128 v101, v[10:13] offset:880
	ds_write_b128 v101, v[18:21] offset:1760
	;; [unrolled: 1-line block ×14, first 2 shown]
	v_lshlrev_b32_e32 v0, 1, v100
	v_lshlrev_b64 v[6:7], 4, v[0:1]
	s_movk_i32 s6, 0x1080
	v_add_co_u32_e64 v6, s[0:1], s12, v6
	v_addc_co_u32_e64 v7, s[0:1], v5, v7, s[0:1]
	v_add_co_u32_e64 v14, s[0:1], s6, v6
	v_addc_co_u32_e64 v15, s[0:1], 0, v7, s[0:1]
	s_movk_i32 s7, 0x1000
	v_add_co_u32_e64 v16, s[0:1], s7, v6
	v_addc_co_u32_e64 v17, s[0:1], 0, v7, s[0:1]
	s_waitcnt lgkmcnt(0)
	; wave barrier
	s_waitcnt lgkmcnt(0)
	global_load_dwordx4 v[6:9], v[16:17], off offset:128
	global_load_dwordx4 v[10:13], v[14:15], off offset:16
	v_lshlrev_b32_e32 v14, 1, v102
	v_mov_b32_e32 v15, v1
	v_lshlrev_b64 v[14:15], 4, v[14:15]
	v_add_co_u32_e64 v14, s[0:1], s12, v14
	v_addc_co_u32_e64 v15, s[0:1], v5, v15, s[0:1]
	v_add_co_u32_e64 v22, s[0:1], s6, v14
	v_addc_co_u32_e64 v23, s[0:1], 0, v15, s[0:1]
	;; [unrolled: 2-line block ×3, first 2 shown]
	global_load_dwordx4 v[14:17], v[24:25], off offset:128
	global_load_dwordx4 v[18:21], v[22:23], off offset:16
	v_lshlrev_b32_e32 v22, 1, v4
	v_mov_b32_e32 v23, v1
	v_lshlrev_b64 v[22:23], 4, v[22:23]
	v_add_co_u32_e64 v4, s[0:1], s12, v22
	v_addc_co_u32_e64 v22, s[0:1], v5, v23, s[0:1]
	v_add_co_u32_e64 v30, s[0:1], s6, v4
	v_addc_co_u32_e64 v31, s[0:1], 0, v22, s[0:1]
	;; [unrolled: 2-line block ×3, first 2 shown]
	global_load_dwordx4 v[22:25], v[32:33], off offset:128
	global_load_dwordx4 v[26:29], v[30:31], off offset:16
	v_add_u32_e32 v30, 0x14a, v0
	v_mov_b32_e32 v31, v1
	v_lshlrev_b64 v[30:31], 4, v[30:31]
	v_add_u32_e32 v0, 0x1b8, v0
	v_add_co_u32_e64 v4, s[0:1], s12, v30
	v_addc_co_u32_e64 v30, s[0:1], v5, v31, s[0:1]
	v_add_co_u32_e64 v38, s[0:1], s6, v4
	v_addc_co_u32_e64 v39, s[0:1], 0, v30, s[0:1]
	;; [unrolled: 2-line block ×3, first 2 shown]
	global_load_dwordx4 v[30:33], v[40:41], off offset:128
	global_load_dwordx4 v[34:37], v[38:39], off offset:16
	v_lshlrev_b64 v[0:1], 4, v[0:1]
	v_add_co_u32_e64 v4, s[0:1], s12, v0
	v_addc_co_u32_e64 v5, s[0:1], v5, v1, s[0:1]
	v_add_co_u32_e64 v0, s[0:1], s7, v4
	v_addc_co_u32_e64 v1, s[0:1], 0, v5, s[0:1]
	global_load_dwordx4 v[38:41], v[0:1], off offset:128
	v_add_co_u32_e64 v0, s[0:1], s6, v4
	v_addc_co_u32_e64 v1, s[0:1], 0, v5, s[0:1]
	global_load_dwordx4 v[42:45], v[0:1], off offset:16
	ds_read_b128 v[46:49], v101 offset:8800
	ds_read_b128 v[50:53], v2
	ds_read_b128 v[60:63], v101 offset:4400
	ds_read_b128 v[64:67], v101 offset:5280
	;; [unrolled: 1-line block ×8, first 2 shown]
	ds_read_b128 v[92:95], v101
	ds_read_b128 v[96:99], v101 offset:3520
	ds_read_b128 v[102:105], v101 offset:7920
	;; [unrolled: 1-line block ×4, first 2 shown]
	s_mov_b32 s0, 0xe8584caa
	s_mov_b32 s1, 0x3febb67a
	;; [unrolled: 1-line block ×4, first 2 shown]
	s_waitcnt lgkmcnt(0)
	; wave barrier
	s_waitcnt vmcnt(9) lgkmcnt(0)
	v_mul_f64 v[0:1], v[62:63], v[8:9]
	v_mul_f64 v[4:5], v[60:61], v[8:9]
	s_waitcnt vmcnt(8)
	v_mul_f64 v[8:9], v[48:49], v[12:13]
	v_mul_f64 v[12:13], v[46:47], v[12:13]
	v_fma_f64 v[0:1], v[60:61], v[6:7], -v[0:1]
	v_fma_f64 v[6:7], v[62:63], v[6:7], v[4:5]
	v_fma_f64 v[46:47], v[46:47], v[10:11], -v[8:9]
	v_fma_f64 v[10:11], v[48:49], v[10:11], v[12:13]
	s_waitcnt vmcnt(7)
	v_mul_f64 v[54:55], v[66:67], v[16:17]
	v_mul_f64 v[16:17], v[64:65], v[16:17]
	s_waitcnt vmcnt(6)
	v_mul_f64 v[4:5], v[70:71], v[20:21]
	v_mul_f64 v[8:9], v[68:69], v[20:21]
	v_fma_f64 v[48:49], v[64:65], v[14:15], -v[54:55]
	v_fma_f64 v[14:15], v[66:67], v[14:15], v[16:17]
	v_fma_f64 v[20:21], v[68:69], v[18:19], -v[4:5]
	v_fma_f64 v[18:19], v[70:71], v[18:19], v[8:9]
	s_waitcnt vmcnt(5)
	v_mul_f64 v[12:13], v[86:87], v[24:25]
	v_mul_f64 v[16:17], v[84:85], v[24:25]
	s_waitcnt vmcnt(4)
	v_mul_f64 v[4:5], v[74:75], v[28:29]
	v_mul_f64 v[24:25], v[72:73], v[28:29]
	v_fma_f64 v[54:55], v[86:87], v[22:23], v[16:17]
	v_add_f64 v[16:17], v[0:1], v[46:47]
	v_fma_f64 v[60:61], v[72:73], v[26:27], -v[4:5]
	v_fma_f64 v[62:63], v[74:75], v[26:27], v[24:25]
	v_add_f64 v[26:27], v[6:7], -v[10:11]
	s_waitcnt vmcnt(3)
	v_mul_f64 v[28:29], v[90:91], v[32:33]
	v_mul_f64 v[8:9], v[88:89], v[32:33]
	v_fma_f64 v[32:33], v[84:85], v[22:23], -v[12:13]
	s_waitcnt vmcnt(2)
	v_mul_f64 v[12:13], v[108:109], v[36:37]
	v_mul_f64 v[4:5], v[106:107], v[36:37]
	v_fma_f64 v[16:17], v[16:17], -0.5, v[92:93]
	v_add_f64 v[36:37], v[54:55], -v[62:63]
	v_fma_f64 v[64:65], v[88:89], v[30:31], -v[28:29]
	v_fma_f64 v[66:67], v[90:91], v[30:31], v[8:9]
	v_add_f64 v[28:29], v[14:15], -v[18:19]
	v_fma_f64 v[68:69], v[106:107], v[34:35], -v[12:13]
	s_waitcnt vmcnt(1)
	v_mul_f64 v[12:13], v[102:103], v[40:41]
	v_mul_f64 v[8:9], v[104:105], v[40:41]
	v_fma_f64 v[70:71], v[108:109], v[34:35], v[4:5]
	v_add_f64 v[4:5], v[92:93], v[0:1]
	v_add_f64 v[0:1], v[0:1], -v[46:47]
	s_waitcnt vmcnt(0)
	v_mul_f64 v[22:23], v[112:113], v[44:45]
	v_mul_f64 v[24:25], v[110:111], v[44:45]
	v_add_f64 v[30:31], v[52:53], v[14:15]
	v_fma_f64 v[74:75], v[104:105], v[38:39], v[12:13]
	v_add_f64 v[12:13], v[6:7], v[10:11]
	v_fma_f64 v[72:73], v[102:103], v[38:39], -v[8:9]
	v_fma_f64 v[8:9], v[26:27], s[0:1], v[16:17]
	v_add_f64 v[6:7], v[94:95], v[6:7]
	v_fma_f64 v[84:85], v[110:111], v[42:43], -v[22:23]
	v_add_f64 v[22:23], v[48:49], v[20:21]
	v_fma_f64 v[86:87], v[112:113], v[42:43], v[24:25]
	v_add_f64 v[34:35], v[48:49], -v[20:21]
	v_fma_f64 v[24:25], v[12:13], -0.5, v[94:95]
	v_fma_f64 v[12:13], v[26:27], s[6:7], v[16:17]
	v_add_f64 v[16:17], v[50:51], v[48:49]
	v_add_f64 v[26:27], v[14:15], v[18:19]
	;; [unrolled: 1-line block ×3, first 2 shown]
	v_fma_f64 v[22:23], v[22:23], -0.5, v[50:51]
	v_add_f64 v[38:39], v[64:65], v[68:69]
	v_add_f64 v[4:5], v[4:5], v[46:47]
	v_fma_f64 v[10:11], v[0:1], s[6:7], v[24:25]
	v_fma_f64 v[14:15], v[0:1], s[0:1], v[24:25]
	v_add_f64 v[16:17], v[16:17], v[20:21]
	v_add_f64 v[0:1], v[32:33], v[60:61]
	v_fma_f64 v[26:27], v[26:27], -0.5, v[52:53]
	v_fma_f64 v[20:21], v[28:29], s[0:1], v[22:23]
	v_fma_f64 v[24:25], v[28:29], s[6:7], v[22:23]
	v_add_f64 v[28:29], v[54:55], v[62:63]
	v_add_f64 v[18:19], v[30:31], v[18:19]
	;; [unrolled: 1-line block ×3, first 2 shown]
	v_add_f64 v[42:43], v[32:33], -v[60:61]
	v_fma_f64 v[0:1], v[0:1], -0.5, v[76:77]
	v_fma_f64 v[22:23], v[34:35], s[6:7], v[26:27]
	v_fma_f64 v[26:27], v[34:35], s[0:1], v[26:27]
	v_add_f64 v[34:35], v[78:79], v[54:55]
	v_fma_f64 v[40:41], v[28:29], -0.5, v[78:79]
	v_add_f64 v[44:45], v[80:81], v[64:65]
	v_fma_f64 v[46:47], v[38:39], -0.5, v[80:81]
	v_add_f64 v[48:49], v[66:67], -v[70:71]
	v_add_f64 v[28:29], v[30:31], v[60:61]
	v_fma_f64 v[32:33], v[36:37], s[0:1], v[0:1]
	v_fma_f64 v[36:37], v[36:37], s[6:7], v[0:1]
	v_add_f64 v[30:31], v[34:35], v[62:63]
	v_fma_f64 v[34:35], v[42:43], s[6:7], v[40:41]
	v_add_f64 v[0:1], v[66:67], v[70:71]
	;; [unrolled: 2-line block ×3, first 2 shown]
	v_add_f64 v[42:43], v[72:73], v[84:85]
	v_fma_f64 v[44:45], v[48:49], s[0:1], v[46:47]
	v_fma_f64 v[48:49], v[48:49], s[6:7], v[46:47]
	v_add_f64 v[46:47], v[74:75], v[86:87]
	v_add_f64 v[50:51], v[82:83], v[66:67]
	v_fma_f64 v[0:1], v[0:1], -0.5, v[82:83]
	v_add_f64 v[52:53], v[64:65], -v[68:69]
	v_add_f64 v[54:55], v[96:97], v[72:73]
	v_fma_f64 v[62:63], v[42:43], -0.5, v[96:97]
	v_add_f64 v[64:65], v[74:75], -v[86:87]
	;; [unrolled: 3-line block ×3, first 2 shown]
	v_add_f64 v[42:43], v[50:51], v[70:71]
	v_fma_f64 v[46:47], v[52:53], s[6:7], v[0:1]
	v_fma_f64 v[50:51], v[52:53], s[0:1], v[0:1]
	v_add_f64 v[52:53], v[54:55], v[84:85]
	v_fma_f64 v[60:61], v[64:65], s[0:1], v[62:63]
	v_fma_f64 v[64:65], v[64:65], s[6:7], v[62:63]
	v_add_f64 v[54:55], v[66:67], v[86:87]
	v_fma_f64 v[62:63], v[72:73], s[6:7], v[68:69]
	v_fma_f64 v[66:67], v[72:73], s[0:1], v[68:69]
	ds_write_b128 v101, v[4:7]
	ds_write_b128 v101, v[8:11] offset:4400
	ds_write_b128 v101, v[12:15] offset:8800
	ds_write_b128 v2, v[16:19]
	ds_write_b128 v2, v[20:23] offset:4400
	ds_write_b128 v2, v[24:27] offset:8800
	ds_write_b128 v3, v[28:31] offset:1760
	ds_write_b128 v3, v[32:35] offset:6160
	ds_write_b128 v3, v[36:39] offset:10560
	ds_write_b128 v3, v[40:43] offset:2640
	ds_write_b128 v3, v[44:47] offset:7040
	ds_write_b128 v3, v[48:51] offset:11440
	ds_write_b128 v101, v[52:55] offset:3520
	ds_write_b128 v101, v[60:63] offset:7920
	ds_write_b128 v101, v[64:67] offset:12320
	s_waitcnt lgkmcnt(0)
	; wave barrier
	s_waitcnt lgkmcnt(0)
	s_and_saveexec_b64 s[0:1], vcc
	s_cbranch_execz .LBB0_17
; %bb.16:
	v_mad_u64_u32 v[0:1], s[0:1], s2, v100, 0
	v_mad_u64_u32 v[2:3], s[0:1], s4, v58, 0
	v_mul_lo_u32 v6, s5, v58
	v_mul_lo_u32 v7, s4, v59
	v_mad_u64_u32 v[4:5], s[0:1], s3, v100, v[1:2]
	v_lshl_add_u32 v15, v100, 4, 0
	v_add3_u32 v3, v3, v7, v6
	v_lshlrev_b64 v[2:3], 4, v[2:3]
	v_mov_b32_e32 v1, v4
	v_mov_b32_e32 v4, s11
	v_add_co_u32_e32 v5, vcc, s10, v2
	v_addc_co_u32_e32 v4, vcc, v4, v3, vcc
	v_lshlrev_b64 v[2:3], 4, v[56:57]
	v_lshlrev_b64 v[0:1], 4, v[0:1]
	v_add_co_u32_e32 v16, vcc, v5, v2
	v_add_u32_e32 v2, 55, v100
	v_mad_u64_u32 v[8:9], s[0:1], s2, v2, 0
	v_addc_co_u32_e32 v17, vcc, v4, v3, vcc
	v_add_co_u32_e32 v10, vcc, v16, v0
	v_mov_b32_e32 v0, v9
	v_mad_u64_u32 v[12:13], s[0:1], s3, v2, v[0:1]
	v_add_u32_e32 v18, 0x6e, v100
	v_addc_co_u32_e32 v11, vcc, v17, v1, vcc
	ds_read_b128 v[0:3], v15
	ds_read_b128 v[4:7], v15 offset:880
	v_mad_u64_u32 v[13:14], s[0:1], s2, v18, 0
	v_mov_b32_e32 v9, v12
	s_waitcnt lgkmcnt(1)
	global_store_dwordx4 v[10:11], v[0:3], off
	s_nop 0
	v_mov_b32_e32 v2, v14
	v_mad_u64_u32 v[2:3], s[0:1], s3, v18, v[2:3]
	v_lshlrev_b64 v[0:1], 4, v[8:9]
	v_add_u32_e32 v18, 0xdc, v100
	v_mov_b32_e32 v14, v2
	v_add_u32_e32 v2, 0xa5, v100
	v_add_co_u32_e32 v0, vcc, v16, v0
	v_mad_u64_u32 v[8:9], s[0:1], s2, v2, 0
	v_addc_co_u32_e32 v1, vcc, v17, v1, vcc
	s_waitcnt lgkmcnt(0)
	global_store_dwordx4 v[0:1], v[4:7], off
	v_lshlrev_b64 v[0:1], 4, v[13:14]
	v_add_co_u32_e32 v10, vcc, v16, v0
	v_mov_b32_e32 v0, v9
	v_mad_u64_u32 v[12:13], s[0:1], s3, v2, v[0:1]
	v_addc_co_u32_e32 v11, vcc, v17, v1, vcc
	ds_read_b128 v[0:3], v15 offset:1760
	ds_read_b128 v[4:7], v15 offset:2640
	v_mad_u64_u32 v[13:14], s[0:1], s2, v18, 0
	v_mov_b32_e32 v9, v12
	s_waitcnt lgkmcnt(1)
	global_store_dwordx4 v[10:11], v[0:3], off
	s_nop 0
	v_mov_b32_e32 v2, v14
	v_mad_u64_u32 v[2:3], s[0:1], s3, v18, v[2:3]
	v_lshlrev_b64 v[0:1], 4, v[8:9]
	v_add_u32_e32 v18, 0x14a, v100
	v_mov_b32_e32 v14, v2
	v_add_u32_e32 v2, 0x113, v100
	v_add_co_u32_e32 v0, vcc, v16, v0
	v_mad_u64_u32 v[8:9], s[0:1], s2, v2, 0
	v_addc_co_u32_e32 v1, vcc, v17, v1, vcc
	s_waitcnt lgkmcnt(0)
	global_store_dwordx4 v[0:1], v[4:7], off
	v_lshlrev_b64 v[0:1], 4, v[13:14]
	v_add_co_u32_e32 v10, vcc, v16, v0
	v_mov_b32_e32 v0, v9
	v_mad_u64_u32 v[12:13], s[0:1], s3, v2, v[0:1]
	v_addc_co_u32_e32 v11, vcc, v17, v1, vcc
	ds_read_b128 v[0:3], v15 offset:3520
	;; [unrolled: 23-line block ×6, first 2 shown]
	ds_read_b128 v[4:7], v15 offset:11440
	v_mad_u64_u32 v[13:14], s[0:1], s2, v18, 0
	v_mov_b32_e32 v9, v12
	s_waitcnt lgkmcnt(1)
	global_store_dwordx4 v[10:11], v[0:3], off
	s_nop 0
	v_mov_b32_e32 v2, v14
	v_lshlrev_b64 v[0:1], 4, v[8:9]
	v_mad_u64_u32 v[2:3], s[0:1], s3, v18, v[2:3]
	v_add_co_u32_e32 v0, vcc, v16, v0
	v_addc_co_u32_e32 v1, vcc, v17, v1, vcc
	s_waitcnt lgkmcnt(0)
	global_store_dwordx4 v[0:1], v[4:7], off
	v_mov_b32_e32 v14, v2
	ds_read_b128 v[0:3], v15 offset:12320
	v_lshlrev_b64 v[4:5], 4, v[13:14]
	v_add_co_u32_e32 v4, vcc, v16, v4
	v_addc_co_u32_e32 v5, vcc, v17, v5, vcc
	s_waitcnt lgkmcnt(0)
	global_store_dwordx4 v[4:5], v[0:3], off
.LBB0_17:
	s_endpgm
	.section	.rodata,"a",@progbits
	.p2align	6, 0x0
	.amdhsa_kernel fft_rtc_fwd_len825_factors_11_5_5_3_wgs_55_tpt_55_dp_op_CI_CI_sbrr_dirReg
		.amdhsa_group_segment_fixed_size 0
		.amdhsa_private_segment_fixed_size 0
		.amdhsa_kernarg_size 104
		.amdhsa_user_sgpr_count 6
		.amdhsa_user_sgpr_private_segment_buffer 1
		.amdhsa_user_sgpr_dispatch_ptr 0
		.amdhsa_user_sgpr_queue_ptr 0
		.amdhsa_user_sgpr_kernarg_segment_ptr 1
		.amdhsa_user_sgpr_dispatch_id 0
		.amdhsa_user_sgpr_flat_scratch_init 0
		.amdhsa_user_sgpr_private_segment_size 0
		.amdhsa_uses_dynamic_stack 0
		.amdhsa_system_sgpr_private_segment_wavefront_offset 0
		.amdhsa_system_sgpr_workgroup_id_x 1
		.amdhsa_system_sgpr_workgroup_id_y 0
		.amdhsa_system_sgpr_workgroup_id_z 0
		.amdhsa_system_sgpr_workgroup_info 0
		.amdhsa_system_vgpr_workitem_id 0
		.amdhsa_next_free_vgpr 155
		.amdhsa_next_free_sgpr 42
		.amdhsa_reserve_vcc 1
		.amdhsa_reserve_flat_scratch 0
		.amdhsa_float_round_mode_32 0
		.amdhsa_float_round_mode_16_64 0
		.amdhsa_float_denorm_mode_32 3
		.amdhsa_float_denorm_mode_16_64 3
		.amdhsa_dx10_clamp 1
		.amdhsa_ieee_mode 1
		.amdhsa_fp16_overflow 0
		.amdhsa_exception_fp_ieee_invalid_op 0
		.amdhsa_exception_fp_denorm_src 0
		.amdhsa_exception_fp_ieee_div_zero 0
		.amdhsa_exception_fp_ieee_overflow 0
		.amdhsa_exception_fp_ieee_underflow 0
		.amdhsa_exception_fp_ieee_inexact 0
		.amdhsa_exception_int_div_zero 0
	.end_amdhsa_kernel
	.text
.Lfunc_end0:
	.size	fft_rtc_fwd_len825_factors_11_5_5_3_wgs_55_tpt_55_dp_op_CI_CI_sbrr_dirReg, .Lfunc_end0-fft_rtc_fwd_len825_factors_11_5_5_3_wgs_55_tpt_55_dp_op_CI_CI_sbrr_dirReg
                                        ; -- End function
	.section	.AMDGPU.csdata,"",@progbits
; Kernel info:
; codeLenInByte = 15116
; NumSgprs: 46
; NumVgprs: 155
; ScratchSize: 0
; MemoryBound: 0
; FloatMode: 240
; IeeeMode: 1
; LDSByteSize: 0 bytes/workgroup (compile time only)
; SGPRBlocks: 5
; VGPRBlocks: 38
; NumSGPRsForWavesPerEU: 46
; NumVGPRsForWavesPerEU: 155
; Occupancy: 1
; WaveLimiterHint : 1
; COMPUTE_PGM_RSRC2:SCRATCH_EN: 0
; COMPUTE_PGM_RSRC2:USER_SGPR: 6
; COMPUTE_PGM_RSRC2:TRAP_HANDLER: 0
; COMPUTE_PGM_RSRC2:TGID_X_EN: 1
; COMPUTE_PGM_RSRC2:TGID_Y_EN: 0
; COMPUTE_PGM_RSRC2:TGID_Z_EN: 0
; COMPUTE_PGM_RSRC2:TIDIG_COMP_CNT: 0
	.type	__hip_cuid_992ff62f03ba1aba,@object ; @__hip_cuid_992ff62f03ba1aba
	.section	.bss,"aw",@nobits
	.globl	__hip_cuid_992ff62f03ba1aba
__hip_cuid_992ff62f03ba1aba:
	.byte	0                               ; 0x0
	.size	__hip_cuid_992ff62f03ba1aba, 1

	.ident	"AMD clang version 19.0.0git (https://github.com/RadeonOpenCompute/llvm-project roc-6.4.0 25133 c7fe45cf4b819c5991fe208aaa96edf142730f1d)"
	.section	".note.GNU-stack","",@progbits
	.addrsig
	.addrsig_sym __hip_cuid_992ff62f03ba1aba
	.amdgpu_metadata
---
amdhsa.kernels:
  - .args:
      - .actual_access:  read_only
        .address_space:  global
        .offset:         0
        .size:           8
        .value_kind:     global_buffer
      - .offset:         8
        .size:           8
        .value_kind:     by_value
      - .actual_access:  read_only
        .address_space:  global
        .offset:         16
        .size:           8
        .value_kind:     global_buffer
      - .actual_access:  read_only
        .address_space:  global
        .offset:         24
        .size:           8
        .value_kind:     global_buffer
      - .actual_access:  read_only
        .address_space:  global
        .offset:         32
        .size:           8
        .value_kind:     global_buffer
      - .offset:         40
        .size:           8
        .value_kind:     by_value
      - .actual_access:  read_only
        .address_space:  global
        .offset:         48
        .size:           8
        .value_kind:     global_buffer
      - .actual_access:  read_only
        .address_space:  global
        .offset:         56
        .size:           8
        .value_kind:     global_buffer
      - .offset:         64
        .size:           4
        .value_kind:     by_value
      - .actual_access:  read_only
        .address_space:  global
        .offset:         72
        .size:           8
        .value_kind:     global_buffer
      - .actual_access:  read_only
        .address_space:  global
        .offset:         80
        .size:           8
        .value_kind:     global_buffer
      - .actual_access:  read_only
        .address_space:  global
        .offset:         88
        .size:           8
        .value_kind:     global_buffer
      - .actual_access:  write_only
        .address_space:  global
        .offset:         96
        .size:           8
        .value_kind:     global_buffer
    .group_segment_fixed_size: 0
    .kernarg_segment_align: 8
    .kernarg_segment_size: 104
    .language:       OpenCL C
    .language_version:
      - 2
      - 0
    .max_flat_workgroup_size: 55
    .name:           fft_rtc_fwd_len825_factors_11_5_5_3_wgs_55_tpt_55_dp_op_CI_CI_sbrr_dirReg
    .private_segment_fixed_size: 0
    .sgpr_count:     46
    .sgpr_spill_count: 0
    .symbol:         fft_rtc_fwd_len825_factors_11_5_5_3_wgs_55_tpt_55_dp_op_CI_CI_sbrr_dirReg.kd
    .uniform_work_group_size: 1
    .uses_dynamic_stack: false
    .vgpr_count:     155
    .vgpr_spill_count: 0
    .wavefront_size: 64
amdhsa.target:   amdgcn-amd-amdhsa--gfx906
amdhsa.version:
  - 1
  - 2
...

	.end_amdgpu_metadata
